;; amdgpu-corpus repo=ROCm/rocFFT kind=compiled arch=gfx950 opt=O3
	.text
	.amdgcn_target "amdgcn-amd-amdhsa--gfx950"
	.amdhsa_code_object_version 6
	.protected	bluestein_single_back_len300_dim1_half_op_CI_CI ; -- Begin function bluestein_single_back_len300_dim1_half_op_CI_CI
	.globl	bluestein_single_back_len300_dim1_half_op_CI_CI
	.p2align	8
	.type	bluestein_single_back_len300_dim1_half_op_CI_CI,@function
bluestein_single_back_len300_dim1_half_op_CI_CI: ; @bluestein_single_back_len300_dim1_half_op_CI_CI
; %bb.0:
	s_load_dwordx4 s[16:19], s[0:1], 0x28
	v_mul_u32_u24_e32 v1, 0x889, v0
	v_lshrrev_b32_e32 v1, 16, v1
	v_mov_b32_e32 v9, 0
	v_lshl_add_u32 v10, s2, 1, v1
	v_mov_b32_e32 v11, v9
	s_waitcnt lgkmcnt(0)
	v_cmp_gt_u64_e32 vcc, s[16:17], v[10:11]
	s_and_saveexec_b64 s[2:3], vcc
	s_cbranch_execz .LBB0_10
; %bb.1:
	s_load_dwordx4 s[4:7], s[0:1], 0x18
	s_load_dwordx4 s[8:11], s[0:1], 0x0
	v_mul_lo_u16_e32 v4, 30, v1
	v_sub_u16_e32 v8, v0, v4
	v_mov_b32_e32 v2, s18
	s_waitcnt lgkmcnt(0)
	s_load_dwordx4 s[12:15], s[4:5], 0x0
	v_mov_b32_e32 v3, s19
	v_lshlrev_b32_e32 v20, 2, v8
	global_load_dword v43, v20, s[8:9]
	s_movk_i32 s16, 0xcd
	s_waitcnt lgkmcnt(0)
	v_mad_u64_u32 v[4:5], s[2:3], s14, v10, 0
	v_mov_b32_e32 v0, v5
	v_mad_u64_u32 v[6:7], s[2:3], s15, v10, v[0:1]
	v_mov_b32_e32 v5, v6
	;; [unrolled: 2-line block ×4, first 2 shown]
	v_lshl_add_u64 v[2:3], v[4:5], 2, v[2:3]
	v_lshl_add_u64 v[2:3], v[6:7], 2, v[2:3]
	global_load_dword v0, v[2:3], off
	v_mov_b32_e32 v4, 0x78
	v_mad_u64_u32 v[2:3], s[2:3], s12, v4, v[2:3]
	s_mul_i32 s4, s13, 0x78
	v_add_u32_e32 v3, s4, v3
	global_load_dword v5, v[2:3], off
	global_load_dword v42, v20, s[8:9] offset:120
	v_mad_u64_u32 v[2:3], s[2:3], s12, v4, v[2:3]
	v_add_u32_e32 v3, s4, v3
	global_load_dword v6, v[2:3], off
	global_load_dword v41, v20, s[8:9] offset:240
	v_mad_u64_u32 v[2:3], s[2:3], s12, v4, v[2:3]
	;; [unrolled: 4-line block ×8, first 2 shown]
	v_add_u32_e32 v3, s4, v3
	global_load_dword v4, v[2:3], off
	global_load_dword v11, v20, s[8:9] offset:1080
	v_and_b32_e32 v1, 1, v1
	v_mov_b32_e32 v2, 0x12c
	v_cmp_eq_u32_e32 vcc, 1, v1
	s_load_dwordx4 s[4:7], s[6:7], 0x0
	s_movk_i32 s13, 0x3b9c
	v_cndmask_b32_e32 v1, 0, v2, vcc
	v_lshlrev_b32_e32 v47, 2, v1
	v_add_u32_e32 v35, v47, v20
	v_add_u32_e32 v21, 0x200, v35
	s_mov_b32 s3, 0xbb9c
	s_movk_i32 s14, 0x38b4
	s_mov_b32 s2, 0xb8b4
	s_movk_i32 s12, 0x34f2
	s_movk_i32 s15, 0x3a79
	s_load_dwordx2 s[0:1], s[0:1], 0x38
	v_cmp_gt_u16_e32 vcc, 10, v8
	s_waitcnt vmcnt(18)
	v_lshrrev_b32_e32 v1, 16, v0
	v_mul_f16_sdwa v2, v43, v0 dst_sel:DWORD dst_unused:UNUSED_PAD src0_sel:WORD_1 src1_sel:DWORD
	v_mul_f16_sdwa v3, v43, v1 dst_sel:DWORD dst_unused:UNUSED_PAD src0_sel:WORD_1 src1_sel:DWORD
	v_fma_f16 v1, v43, v1, -v2
	v_fma_f16 v0, v43, v0, v3
	s_waitcnt vmcnt(17)
	v_lshrrev_b32_e32 v2, 16, v5
	s_waitcnt vmcnt(16)
	v_mul_f16_sdwa v3, v42, v5 dst_sel:DWORD dst_unused:UNUSED_PAD src0_sel:WORD_1 src1_sel:DWORD
	v_pack_b32_f16 v0, v0, v1
	v_mul_f16_sdwa v1, v42, v2 dst_sel:DWORD dst_unused:UNUSED_PAD src0_sel:WORD_1 src1_sel:DWORD
	v_fma_f16 v2, v42, v2, -v3
	v_fma_f16 v1, v42, v5, v1
	s_waitcnt vmcnt(15)
	v_lshrrev_b32_e32 v3, 16, v6
	s_waitcnt vmcnt(14)
	v_mul_f16_sdwa v5, v41, v6 dst_sel:DWORD dst_unused:UNUSED_PAD src0_sel:WORD_1 src1_sel:DWORD
	v_pack_b32_f16 v1, v1, v2
	v_mul_f16_sdwa v2, v41, v3 dst_sel:DWORD dst_unused:UNUSED_PAD src0_sel:WORD_1 src1_sel:DWORD
	v_fma_f16 v3, v41, v3, -v5
	ds_write2_b32 v35, v0, v1 offset1:30
	v_fma_f16 v0, v41, v6, v2
	s_waitcnt vmcnt(13)
	v_lshrrev_b32_e32 v1, 16, v7
	s_waitcnt vmcnt(12)
	v_mul_f16_sdwa v2, v40, v7 dst_sel:DWORD dst_unused:UNUSED_PAD src0_sel:WORD_1 src1_sel:DWORD
	v_pack_b32_f16 v0, v0, v3
	v_mul_f16_sdwa v3, v40, v1 dst_sel:DWORD dst_unused:UNUSED_PAD src0_sel:WORD_1 src1_sel:DWORD
	v_fma_f16 v1, v40, v1, -v2
	v_fma_f16 v2, v40, v7, v3
	s_waitcnt vmcnt(11)
	v_lshrrev_b32_e32 v3, 16, v12
	v_pack_b32_f16 v1, v2, v1
	s_waitcnt vmcnt(10)
	v_mul_f16_sdwa v2, v39, v3 dst_sel:DWORD dst_unused:UNUSED_PAD src0_sel:WORD_1 src1_sel:DWORD
	ds_write2_b32 v35, v0, v1 offset0:60 offset1:90
	v_mul_f16_sdwa v1, v39, v12 dst_sel:DWORD dst_unused:UNUSED_PAD src0_sel:WORD_1 src1_sel:DWORD
	v_fma_f16 v0, v39, v12, v2
	v_fma_f16 v1, v39, v3, -v1
	v_pack_b32_f16 v0, v0, v1
	s_waitcnt vmcnt(9)
	v_lshrrev_b32_e32 v1, 16, v13
	s_waitcnt vmcnt(8)
	v_mul_f16_sdwa v2, v38, v1 dst_sel:DWORD dst_unused:UNUSED_PAD src0_sel:WORD_1 src1_sel:DWORD
	v_mul_f16_sdwa v3, v38, v13 dst_sel:DWORD dst_unused:UNUSED_PAD src0_sel:WORD_1 src1_sel:DWORD
	v_fma_f16 v2, v38, v13, v2
	v_fma_f16 v1, v38, v1, -v3
	v_pack_b32_f16 v1, v2, v1
	ds_write2_b32 v35, v0, v1 offset0:120 offset1:150
	s_waitcnt vmcnt(7)
	v_lshrrev_b32_e32 v0, 16, v14
	s_waitcnt vmcnt(6)
	v_mul_f16_sdwa v1, v37, v0 dst_sel:DWORD dst_unused:UNUSED_PAD src0_sel:WORD_1 src1_sel:DWORD
	v_mul_f16_sdwa v2, v37, v14 dst_sel:DWORD dst_unused:UNUSED_PAD src0_sel:WORD_1 src1_sel:DWORD
	v_fma_f16 v1, v37, v14, v1
	v_fma_f16 v0, v37, v0, -v2
	v_pack_b32_f16 v0, v1, v0
	s_waitcnt vmcnt(5)
	v_lshrrev_b32_e32 v1, 16, v15
	s_waitcnt vmcnt(4)
	v_mul_f16_sdwa v2, v36, v1 dst_sel:DWORD dst_unused:UNUSED_PAD src0_sel:WORD_1 src1_sel:DWORD
	v_mul_f16_sdwa v3, v36, v15 dst_sel:DWORD dst_unused:UNUSED_PAD src0_sel:WORD_1 src1_sel:DWORD
	v_fma_f16 v2, v36, v15, v2
	v_fma_f16 v1, v36, v1, -v3
	v_pack_b32_f16 v1, v2, v1
	ds_write2_b32 v35, v0, v1 offset0:180 offset1:210
	s_waitcnt vmcnt(3)
	v_lshrrev_b32_e32 v0, 16, v16
	s_waitcnt vmcnt(2)
	v_mul_f16_sdwa v1, v34, v0 dst_sel:DWORD dst_unused:UNUSED_PAD src0_sel:WORD_1 src1_sel:DWORD
	v_mul_f16_sdwa v2, v34, v16 dst_sel:DWORD dst_unused:UNUSED_PAD src0_sel:WORD_1 src1_sel:DWORD
	v_fma_f16 v1, v34, v16, v1
	v_fma_f16 v0, v34, v0, -v2
	v_pack_b32_f16 v0, v1, v0
	s_waitcnt vmcnt(1)
	v_lshrrev_b32_e32 v1, 16, v4
	s_waitcnt vmcnt(0)
	v_mul_f16_sdwa v2, v11, v1 dst_sel:DWORD dst_unused:UNUSED_PAD src0_sel:WORD_1 src1_sel:DWORD
	v_mul_f16_sdwa v3, v11, v4 dst_sel:DWORD dst_unused:UNUSED_PAD src0_sel:WORD_1 src1_sel:DWORD
	v_fma_f16 v2, v11, v4, v2
	v_fma_f16 v1, v11, v1, -v3
	v_pack_b32_f16 v1, v2, v1
	ds_write2_b32 v21, v0, v1 offset0:112 offset1:142
	s_waitcnt lgkmcnt(0)
	; wave barrier
	s_waitcnt lgkmcnt(0)
	ds_read2_b32 v[0:1], v35 offset1:30
	ds_read2_b32 v[2:3], v35 offset0:120 offset1:150
	ds_read2_b32 v[4:5], v35 offset0:180 offset1:210
	ds_read2_b32 v[6:7], v35 offset0:60 offset1:90
	ds_read2_b32 v[12:13], v21 offset0:112 offset1:142
	v_mul_lo_u16_e32 v14, 10, v8
	v_lshl_add_u32 v44, v14, 2, v47
	s_waitcnt lgkmcnt(2)
	v_add_f16_e32 v14, v2, v4
	v_fma_f16 v14, v14, -0.5, v0
	s_waitcnt lgkmcnt(0)
	v_sub_f16_sdwa v15, v6, v12 dst_sel:DWORD dst_unused:UNUSED_PAD src0_sel:WORD_1 src1_sel:WORD_1
	v_fma_f16 v16, v15, s13, v14
	v_sub_f16_sdwa v17, v2, v4 dst_sel:DWORD dst_unused:UNUSED_PAD src0_sel:WORD_1 src1_sel:WORD_1
	v_sub_f16_e32 v18, v12, v4
	v_sub_f16_e32 v19, v6, v2
	v_fma_f16 v14, v15, s3, v14
	v_fma_f16 v16, v17, s14, v16
	v_add_f16_e32 v18, v19, v18
	v_fma_f16 v14, v17, s2, v14
	v_fma_f16 v16, v18, s12, v16
	;; [unrolled: 1-line block ×3, first 2 shown]
	v_add_f16_e32 v18, v6, v12
	v_fma_f16 v18, v18, -0.5, v0
	v_fma_f16 v19, v17, s3, v18
	v_sub_f16_e32 v22, v4, v12
	v_sub_f16_e32 v23, v2, v6
	v_fma_f16 v17, v17, s13, v18
	v_fma_f16 v19, v15, s14, v19
	v_add_f16_e32 v22, v23, v22
	v_fma_f16 v15, v15, s2, v17
	v_pk_add_f16 v17, v0, v6
	v_add_f16_sdwa v18, v2, v4 dst_sel:DWORD dst_unused:UNUSED_PAD src0_sel:WORD_1 src1_sel:WORD_1
	v_lshrrev_b32_e32 v0, 16, v0
	v_fma_f16 v19, v22, s12, v19
	v_fma_f16 v15, v22, s12, v15
	v_fma_f16 v18, v18, -0.5, v0
	v_sub_f16_e32 v22, v6, v12
	v_fma_f16 v23, v22, s3, v18
	v_sub_f16_e32 v24, v2, v4
	v_sub_f16_sdwa v25, v6, v2 dst_sel:DWORD dst_unused:UNUSED_PAD src0_sel:WORD_1 src1_sel:WORD_1
	v_sub_f16_sdwa v26, v12, v4 dst_sel:DWORD dst_unused:UNUSED_PAD src0_sel:WORD_1 src1_sel:WORD_1
	v_fma_f16 v18, v22, s13, v18
	v_fma_f16 v23, v24, s2, v23
	v_add_f16_e32 v25, v25, v26
	v_fma_f16 v18, v24, s14, v18
	v_fma_f16 v23, v25, s12, v23
	;; [unrolled: 1-line block ×3, first 2 shown]
	v_add_f16_sdwa v25, v6, v12 dst_sel:DWORD dst_unused:UNUSED_PAD src0_sel:WORD_1 src1_sel:WORD_1
	v_pk_add_f16 v17, v17, v2
	v_fma_f16 v0, v25, -0.5, v0
	v_pk_add_f16 v17, v17, v4
	v_fma_f16 v25, v24, s13, v0
	v_sub_f16_sdwa v2, v2, v6 dst_sel:DWORD dst_unused:UNUSED_PAD src0_sel:WORD_1 src1_sel:WORD_1
	v_sub_f16_sdwa v4, v4, v12 dst_sel:DWORD dst_unused:UNUSED_PAD src0_sel:WORD_1 src1_sel:WORD_1
	v_fma_f16 v0, v24, s3, v0
	v_fma_f16 v25, v22, s2, v25
	v_add_f16_e32 v2, v2, v4
	v_fma_f16 v0, v22, s14, v0
	v_fma_f16 v4, v2, s12, v25
	;; [unrolled: 1-line block ×3, first 2 shown]
	v_add_f16_e32 v0, v3, v5
	v_fma_f16 v0, v0, -0.5, v1
	v_sub_f16_sdwa v6, v7, v13 dst_sel:DWORD dst_unused:UNUSED_PAD src0_sel:WORD_1 src1_sel:WORD_1
	v_pk_add_f16 v17, v17, v12
	v_fma_f16 v12, v6, s13, v0
	v_sub_f16_sdwa v22, v3, v5 dst_sel:DWORD dst_unused:UNUSED_PAD src0_sel:WORD_1 src1_sel:WORD_1
	v_sub_f16_e32 v24, v13, v5
	v_sub_f16_e32 v25, v7, v3
	v_fma_f16 v0, v6, s3, v0
	v_fma_f16 v12, v22, s14, v12
	v_add_f16_e32 v24, v25, v24
	v_fma_f16 v0, v22, s2, v0
	v_fma_f16 v12, v24, s12, v12
	;; [unrolled: 1-line block ×3, first 2 shown]
	v_add_f16_e32 v0, v7, v13
	v_fma_f16 v0, v0, -0.5, v1
	v_fma_f16 v25, v22, s3, v0
	v_sub_f16_e32 v26, v5, v13
	v_sub_f16_e32 v27, v3, v7
	v_fma_f16 v0, v22, s13, v0
	v_add_f16_e32 v26, v27, v26
	v_fma_f16 v0, v6, s2, v0
	v_fma_f16 v25, v6, s14, v25
	;; [unrolled: 1-line block ×3, first 2 shown]
	v_pk_add_f16 v0, v1, v7
	v_lshrrev_b32_e32 v1, 16, v1
	v_pk_add_f16 v0, v0, v3
	v_fma_f16 v25, v26, s12, v25
	v_pk_add_f16 v0, v0, v5
	v_sub_f16_e32 v26, v7, v13
	v_pk_add_f16 v22, v0, v13
	v_add_f16_sdwa v0, v3, v5 dst_sel:DWORD dst_unused:UNUSED_PAD src0_sel:WORD_1 src1_sel:WORD_1
	v_fma_f16 v0, v0, -0.5, v1
	v_fma_f16 v27, v26, s3, v0
	v_sub_f16_e32 v28, v3, v5
	v_sub_f16_sdwa v29, v7, v3 dst_sel:DWORD dst_unused:UNUSED_PAD src0_sel:WORD_1 src1_sel:WORD_1
	v_sub_f16_sdwa v30, v13, v5 dst_sel:DWORD dst_unused:UNUSED_PAD src0_sel:WORD_1 src1_sel:WORD_1
	v_fma_f16 v0, v26, s13, v0
	v_fma_f16 v27, v28, s2, v27
	v_add_f16_e32 v29, v29, v30
	v_fma_f16 v0, v28, s14, v0
	v_fma_f16 v27, v29, s12, v27
	;; [unrolled: 1-line block ×3, first 2 shown]
	v_add_f16_sdwa v0, v7, v13 dst_sel:DWORD dst_unused:UNUSED_PAD src0_sel:WORD_1 src1_sel:WORD_1
	v_fma_f16 v0, v0, -0.5, v1
	v_fma_f16 v1, v28, s13, v0
	v_sub_f16_sdwa v3, v3, v7 dst_sel:DWORD dst_unused:UNUSED_PAD src0_sel:WORD_1 src1_sel:WORD_1
	v_sub_f16_sdwa v5, v5, v13 dst_sel:DWORD dst_unused:UNUSED_PAD src0_sel:WORD_1 src1_sel:WORD_1
	v_fma_f16 v0, v28, s3, v0
	v_fma_f16 v1, v26, s2, v1
	v_add_f16_e32 v3, v3, v5
	v_fma_f16 v0, v26, s14, v0
	v_fma_f16 v1, v3, s12, v1
	v_fma_f16 v3, v3, s12, v0
	v_mul_f16_e32 v0, 0x3a79, v12
	v_fma_f16 v5, v27, s14, v0
	v_mul_f16_e32 v0, 0x3b9c, v1
	v_fma_f16 v13, v25, s12, v0
	v_mul_f16_e32 v0, 0x34f2, v6
	v_fma_f16 v28, v3, s13, -v0
	v_mul_f16_e32 v0, 0x3a79, v24
	v_mul_f16_e32 v12, 0xb8b4, v12
	;; [unrolled: 1-line block ×4, first 2 shown]
	v_fma_f16 v31, v29, s14, -v0
	v_fma_f16 v12, v27, s15, v12
	v_fma_f16 v1, v1, s12, v25
	v_fma_f16 v3, v6, s3, -v3
	v_mul_f16_e32 v29, 0x3a79, v29
	v_add_f16_e32 v7, v16, v5
	v_add_f16_e32 v26, v19, v13
	;; [unrolled: 1-line block ×6, first 2 shown]
	v_fma_f16 v24, v24, s2, -v29
	v_add_f16_e32 v32, v14, v31
	v_pk_add_f16 v0, v17, v22
	v_add_f16_e32 v29, v18, v24
	v_sub_f16_e32 v5, v16, v5
	v_sub_f16_e32 v13, v19, v13
	;; [unrolled: 1-line block ×5, first 2 shown]
	v_pack_b32_f16 v1, v7, v27
	v_pack_b32_f16 v3, v30, v6
	;; [unrolled: 1-line block ×3, first 2 shown]
	v_sub_f16_e32 v15, v15, v28
	v_sub_f16_e32 v14, v14, v31
	;; [unrolled: 1-line block ×3, first 2 shown]
	s_waitcnt lgkmcnt(0)
	; wave barrier
	ds_write2_b64 v44, v[0:1], v[2:3] offset1:1
	v_pk_add_f16 v1, v17, v22 neg_lo:[0,1] neg_hi:[0,1]
	v_pack_b32_f16 v2, v5, v12
	v_pack_b32_f16 v3, v13, v4
	;; [unrolled: 1-line block ×3, first 2 shown]
	ds_write2_b64 v44, v[0:1], v[2:3] offset0:2 offset1:3
	v_pack_b32_f16 v1, v14, v18
	v_pack_b32_f16 v0, v15, v16
	ds_write_b64 v44, v[0:1] offset:32
	v_mul_lo_u16_sdwa v0, v8, s16 dst_sel:DWORD dst_unused:UNUSED_PAD src0_sel:BYTE_0 src1_sel:DWORD
	v_lshrrev_b16_e32 v24, 11, v0
	v_mul_lo_u16_e32 v0, 10, v24
	v_sub_u16_e32 v0, v8, v0
	v_and_b32_e32 v25, 0xff, v0
	v_mad_u64_u32 v[12:13], s[16:17], v25, 36, s[10:11]
	s_waitcnt lgkmcnt(0)
	; wave barrier
	s_waitcnt lgkmcnt(0)
	global_load_dwordx4 v[0:3], v[12:13], off
	global_load_dwordx4 v[4:7], v[12:13], off offset:16
	global_load_dword v45, v[12:13], off offset:32
	ds_read2_b32 v[12:13], v35 offset1:30
	ds_read2_b32 v[14:15], v35 offset0:60 offset1:90
	ds_read2_b32 v[16:17], v35 offset0:120 offset1:150
	;; [unrolled: 1-line block ×4, first 2 shown]
	s_waitcnt lgkmcnt(4)
	v_lshrrev_b32_e32 v27, 16, v13
	s_waitcnt lgkmcnt(3)
	v_lshrrev_b32_e32 v28, 16, v14
	v_lshrrev_b32_e32 v29, 16, v15
	s_waitcnt lgkmcnt(2)
	v_lshrrev_b32_e32 v21, 16, v16
	;; [unrolled: 3-line block ×4, first 2 shown]
	v_lshrrev_b32_e32 v46, 16, v23
	v_lshrrev_b32_e32 v26, 16, v12
	s_waitcnt lgkmcnt(0)
	; wave barrier
	s_waitcnt vmcnt(2)
	v_mul_f16_sdwa v48, v27, v0 dst_sel:DWORD dst_unused:UNUSED_PAD src0_sel:DWORD src1_sel:WORD_1
	v_fma_f16 v48, v13, v0, -v48
	v_mul_f16_sdwa v13, v13, v0 dst_sel:DWORD dst_unused:UNUSED_PAD src0_sel:DWORD src1_sel:WORD_1
	v_fma_f16 v13, v27, v0, v13
	v_mul_f16_sdwa v27, v28, v1 dst_sel:DWORD dst_unused:UNUSED_PAD src0_sel:DWORD src1_sel:WORD_1
	v_fma_f16 v27, v14, v1, -v27
	v_mul_f16_sdwa v14, v14, v1 dst_sel:DWORD dst_unused:UNUSED_PAD src0_sel:DWORD src1_sel:WORD_1
	v_fma_f16 v14, v28, v1, v14
	;; [unrolled: 4-line block ×4, first 2 shown]
	s_waitcnt vmcnt(1)
	v_mul_f16_sdwa v21, v30, v4 dst_sel:DWORD dst_unused:UNUSED_PAD src0_sel:DWORD src1_sel:WORD_1
	v_fma_f16 v21, v17, v4, -v21
	v_mul_f16_sdwa v17, v17, v4 dst_sel:DWORD dst_unused:UNUSED_PAD src0_sel:DWORD src1_sel:WORD_1
	v_fma_f16 v17, v30, v4, v17
	v_mul_f16_sdwa v30, v31, v5 dst_sel:DWORD dst_unused:UNUSED_PAD src0_sel:DWORD src1_sel:WORD_1
	v_fma_f16 v30, v18, v5, -v30
	v_mul_f16_sdwa v18, v18, v5 dst_sel:DWORD dst_unused:UNUSED_PAD src0_sel:DWORD src1_sel:WORD_1
	v_fma_f16 v18, v31, v5, v18
	;; [unrolled: 4-line block ×4, first 2 shown]
	v_add_f16_e32 v49, v29, v30
	v_fma_f16 v49, v49, -0.5, v12
	v_sub_f16_e32 v50, v14, v22
	v_fma_f16 v51, v50, s13, v49
	v_sub_f16_e32 v52, v16, v18
	v_sub_f16_e32 v53, v27, v29
	;; [unrolled: 1-line block ×3, first 2 shown]
	v_fma_f16 v49, v50, s3, v49
	s_waitcnt vmcnt(0)
	v_mul_f16_sdwa v33, v46, v45 dst_sel:DWORD dst_unused:UNUSED_PAD src0_sel:DWORD src1_sel:WORD_1
	v_fma_f16 v51, v52, s14, v51
	v_add_f16_e32 v53, v53, v54
	v_fma_f16 v49, v52, s2, v49
	v_fma_f16 v33, v23, v45, -v33
	v_mul_f16_sdwa v23, v23, v45 dst_sel:DWORD dst_unused:UNUSED_PAD src0_sel:DWORD src1_sel:WORD_1
	v_fma_f16 v51, v53, s12, v51
	v_fma_f16 v49, v53, s12, v49
	v_add_f16_e32 v53, v27, v32
	v_fma_f16 v23, v46, v45, v23
	v_add_f16_e32 v46, v12, v27
	v_fma_f16 v12, v53, -0.5, v12
	v_add_f16_e32 v46, v46, v29
	v_fma_f16 v53, v52, s3, v12
	v_fma_f16 v12, v52, s13, v12
	v_add_f16_e32 v52, v16, v18
	v_add_f16_e32 v46, v46, v30
	v_sub_f16_e32 v54, v29, v27
	v_sub_f16_e32 v55, v30, v32
	v_fma_f16 v52, v52, -0.5, v26
	v_sub_f16_e32 v27, v27, v32
	v_add_f16_e32 v46, v46, v32
	v_fma_f16 v53, v50, s14, v53
	v_add_f16_e32 v54, v54, v55
	v_fma_f16 v12, v50, s2, v12
	v_fma_f16 v32, v27, s3, v52
	v_sub_f16_e32 v29, v29, v30
	v_fma_f16 v53, v54, s12, v53
	v_fma_f16 v12, v54, s12, v12
	v_fma_f16 v30, v29, s2, v32
	v_sub_f16_e32 v32, v14, v16
	v_sub_f16_e32 v54, v22, v18
	v_fma_f16 v52, v27, s13, v52
	v_add_f16_e32 v50, v26, v14
	v_add_f16_e32 v32, v32, v54
	v_fma_f16 v52, v29, s14, v52
	v_add_f16_e32 v50, v50, v16
	v_fma_f16 v30, v32, s12, v30
	v_fma_f16 v32, v32, s12, v52
	v_add_f16_e32 v52, v14, v22
	v_add_f16_e32 v50, v50, v18
	v_fma_f16 v26, v52, -0.5, v26
	v_add_f16_e32 v50, v50, v22
	v_fma_f16 v52, v29, s13, v26
	v_sub_f16_e32 v14, v16, v14
	v_sub_f16_e32 v16, v18, v22
	v_add_f16_e32 v22, v21, v31
	v_fma_f16 v52, v27, s2, v52
	v_add_f16_e32 v14, v14, v16
	v_fma_f16 v18, v29, s3, v26
	v_fma_f16 v22, v22, -0.5, v48
	v_sub_f16_e32 v26, v15, v23
	v_fma_f16 v16, v14, s12, v52
	v_fma_f16 v18, v27, s14, v18
	;; [unrolled: 1-line block ×3, first 2 shown]
	v_sub_f16_e32 v29, v17, v19
	v_sub_f16_e32 v52, v28, v21
	;; [unrolled: 1-line block ×3, first 2 shown]
	v_fma_f16 v22, v26, s3, v22
	v_fma_f16 v27, v29, s14, v27
	v_add_f16_e32 v52, v52, v54
	v_fma_f16 v22, v29, s2, v22
	v_fma_f16 v27, v52, s12, v27
	;; [unrolled: 1-line block ×3, first 2 shown]
	v_add_f16_e32 v52, v28, v33
	v_fma_f16 v14, v14, s12, v18
	v_add_f16_e32 v18, v48, v28
	v_fma_f16 v48, v52, -0.5, v48
	v_add_f16_e32 v18, v18, v21
	v_fma_f16 v52, v29, s3, v48
	v_fma_f16 v29, v29, s13, v48
	v_add_f16_e32 v48, v17, v19
	v_add_f16_e32 v18, v18, v31
	v_sub_f16_e32 v54, v21, v28
	v_sub_f16_e32 v55, v31, v33
	v_fma_f16 v48, v48, -0.5, v13
	v_sub_f16_e32 v28, v28, v33
	v_add_f16_e32 v18, v18, v33
	v_fma_f16 v52, v26, s14, v52
	v_add_f16_e32 v54, v54, v55
	v_fma_f16 v26, v26, s2, v29
	v_fma_f16 v33, v28, s3, v48
	v_sub_f16_e32 v21, v21, v31
	v_fma_f16 v52, v54, s12, v52
	v_fma_f16 v26, v54, s12, v26
	;; [unrolled: 1-line block ×3, first 2 shown]
	v_sub_f16_e32 v33, v15, v17
	v_sub_f16_e32 v54, v23, v19
	v_fma_f16 v48, v28, s13, v48
	v_add_f16_e32 v33, v33, v54
	v_fma_f16 v48, v21, s14, v48
	v_fma_f16 v31, v33, s12, v31
	v_fma_f16 v33, v33, s12, v48
	v_add_f16_e32 v48, v15, v23
	v_add_f16_e32 v29, v13, v15
	v_fma_f16 v13, v48, -0.5, v13
	v_add_f16_e32 v29, v29, v17
	v_fma_f16 v48, v21, s13, v13
	v_sub_f16_e32 v15, v17, v15
	v_sub_f16_e32 v17, v19, v23
	v_fma_f16 v13, v21, s3, v13
	v_fma_f16 v48, v28, s2, v48
	v_add_f16_e32 v15, v15, v17
	v_fma_f16 v13, v28, s14, v13
	v_fma_f16 v17, v15, s12, v48
	;; [unrolled: 1-line block ×3, first 2 shown]
	v_mul_f16_e32 v48, 0x34f2, v26
	v_add_f16_e32 v29, v29, v19
	v_mul_f16_e32 v19, 0x38b4, v31
	v_fma_f16 v48, v13, s13, -v48
	v_mul_f16_e32 v13, 0x34f2, v13
	v_add_f16_e32 v29, v29, v23
	v_fma_f16 v19, v27, s15, v19
	v_mul_f16_e32 v23, 0x3b9c, v17
	v_mul_f16_e32 v27, 0xb8b4, v27
	v_fma_f16 v13, v26, s3, -v13
	v_fma_f16 v23, v52, s12, v23
	v_mul_f16_e32 v55, 0x3a79, v22
	v_fma_f16 v27, v31, s15, v27
	v_mul_f16_e32 v52, 0xbb9c, v52
	v_add_f16_e32 v26, v14, v13
	v_sub_f16_e32 v13, v14, v13
	v_mul_u32_u24_e32 v14, 0x64, v24
	v_add_f16_e32 v15, v46, v18
	v_add_f16_e32 v21, v51, v19
	v_fma_f16 v55, v33, s14, -v55
	v_add_f16_e32 v57, v50, v29
	v_add_f16_e32 v31, v30, v27
	v_fma_f16 v17, v17, s12, v52
	v_mul_f16_e32 v33, 0x3a79, v33
	v_add_u32_e32 v14, v14, v25
	v_add_f16_e32 v28, v53, v23
	v_add_f16_e32 v54, v12, v48
	;; [unrolled: 1-line block ×3, first 2 shown]
	v_fma_f16 v33, v22, s2, -v33
	v_sub_f16_e32 v18, v46, v18
	v_lshl_add_u32 v46, v14, 2, v47
	v_pack_b32_f16 v14, v15, v57
	v_pack_b32_f16 v15, v21, v31
	v_add_f16_e32 v56, v49, v55
	v_add_f16_e32 v58, v32, v33
	v_sub_f16_e32 v29, v50, v29
	ds_write2_b32 v46, v14, v15 offset1:10
	v_pack_b32_f16 v14, v28, v52
	v_pack_b32_f16 v15, v54, v26
	v_sub_f16_e32 v19, v51, v19
	v_sub_f16_e32 v23, v53, v23
	;; [unrolled: 1-line block ×7, first 2 shown]
	ds_write2_b32 v46, v14, v15 offset0:20 offset1:30
	v_pack_b32_f16 v14, v56, v58
	v_pack_b32_f16 v15, v18, v29
	ds_write2_b32 v46, v14, v15 offset0:40 offset1:50
	v_pack_b32_f16 v14, v19, v27
	v_pack_b32_f16 v15, v23, v16
	v_pack_b32_f16 v12, v12, v13
	v_pack_b32_f16 v13, v22, v48
	ds_write2_b32 v46, v14, v15 offset0:60 offset1:70
	ds_write2_b32 v46, v12, v13 offset0:80 offset1:90
	s_waitcnt lgkmcnt(0)
	; wave barrier
	s_waitcnt lgkmcnt(0)
	ds_read2_b32 v[26:27], v35 offset1:30
	ds_read2_b32 v[24:25], v35 offset0:60 offset1:100
	ds_read2_b32 v[30:31], v35 offset0:200 offset1:230
	;; [unrolled: 1-line block ×3, first 2 shown]
	ds_read_b32 v52, v35 offset:1040
	v_mov_b32_e32 v21, v9
                                        ; implicit-def: $vgpr50
                                        ; implicit-def: $vgpr49
                                        ; implicit-def: $vgpr51
	s_and_saveexec_b64 s[2:3], vcc
	s_cbranch_execz .LBB0_3
; %bb.2:
	ds_read2_b32 v[22:23], v35 offset0:90 offset1:190
	ds_read_b32 v49, v35 offset:1160
	s_waitcnt lgkmcnt(1)
	v_lshrrev_b32_e32 v48, 16, v22
	v_lshrrev_b32_e32 v50, 16, v23
	s_waitcnt lgkmcnt(0)
	v_lshrrev_b32_e32 v51, 16, v49
.LBB0_3:
	s_or_b64 exec, exec, s[2:3]
	v_lshlrev_b32_e32 v12, 3, v8
	v_add_u32_e32 v13, 0xf0, v12
	global_load_dwordx2 v[14:15], v12, s[10:11] offset:360
	global_load_dwordx2 v[16:17], v13, s[10:11] offset:360
	v_add_u32_e32 v12, 0x1e0, v12
	s_mov_b64 s[2:3], 0x5a
	global_load_dwordx2 v[18:19], v12, s[10:11] offset:360
	v_lshl_add_u64 v[12:13], v[8:9], 0, -10
	v_lshl_add_u64 v[28:29], v[8:9], 0, s[2:3]
	v_cndmask_b32_e32 v13, v13, v29, vcc
	v_cndmask_b32_e32 v12, v12, v28, vcc
	v_lshl_add_u64 v[12:13], v[12:13], 3, s[10:11]
	global_load_dwordx2 v[12:13], v[12:13], off offset:360
	v_lshl_add_u64 v[28:29], s[8:9], 0, v[20:21]
	s_waitcnt lgkmcnt(3)
	v_lshrrev_b32_e32 v20, 16, v25
	s_waitcnt lgkmcnt(2)
	v_lshrrev_b32_e32 v21, 16, v30
	;; [unrolled: 2-line block ×3, first 2 shown]
	v_lshrrev_b32_e32 v55, 16, v31
	v_lshrrev_b32_e32 v9, 16, v26
	s_waitcnt lgkmcnt(0)
	v_lshrrev_b32_e32 v58, 16, v52
	v_lshrrev_b32_e32 v57, 16, v33
	;; [unrolled: 1-line block ×3, first 2 shown]
	s_movk_i32 s2, 0x3aee
	s_mov_b32 s3, 0xbaee
	v_lshrrev_b32_e32 v56, 16, v24
	s_waitcnt vmcnt(3)
	v_mul_f16_sdwa v59, v20, v14 dst_sel:DWORD dst_unused:UNUSED_PAD src0_sel:DWORD src1_sel:WORD_1
	v_mul_f16_sdwa v60, v25, v14 dst_sel:DWORD dst_unused:UNUSED_PAD src0_sel:DWORD src1_sel:WORD_1
	v_mul_f16_sdwa v61, v21, v15 dst_sel:DWORD dst_unused:UNUSED_PAD src0_sel:DWORD src1_sel:WORD_1
	v_mul_f16_sdwa v62, v30, v15 dst_sel:DWORD dst_unused:UNUSED_PAD src0_sel:DWORD src1_sel:WORD_1
	v_fma_f16 v25, v25, v14, -v59
	v_fma_f16 v20, v20, v14, v60
	v_fma_f16 v30, v30, v15, -v61
	v_fma_f16 v21, v21, v15, v62
	s_waitcnt vmcnt(2)
	v_mul_f16_sdwa v59, v54, v16 dst_sel:DWORD dst_unused:UNUSED_PAD src0_sel:DWORD src1_sel:WORD_1
	v_mul_f16_sdwa v60, v32, v16 dst_sel:DWORD dst_unused:UNUSED_PAD src0_sel:DWORD src1_sel:WORD_1
	;; [unrolled: 1-line block ×4, first 2 shown]
	s_waitcnt vmcnt(1)
	v_mul_f16_sdwa v64, v33, v18 dst_sel:DWORD dst_unused:UNUSED_PAD src0_sel:DWORD src1_sel:WORD_1
	v_mul_f16_sdwa v65, v58, v19 dst_sel:DWORD dst_unused:UNUSED_PAD src0_sel:DWORD src1_sel:WORD_1
	;; [unrolled: 1-line block ×3, first 2 shown]
	v_fma_f16 v32, v32, v16, -v59
	v_fma_f16 v54, v54, v16, v60
	v_fma_f16 v59, v31, v17, -v61
	v_fma_f16 v55, v55, v17, v62
	v_add_f16_e32 v60, v25, v30
	v_sub_f16_e32 v61, v20, v21
	v_add_f16_e32 v62, v9, v20
	v_add_f16_e32 v20, v20, v21
	v_mul_f16_sdwa v63, v57, v18 dst_sel:DWORD dst_unused:UNUSED_PAD src0_sel:DWORD src1_sel:WORD_1
	v_fma_f16 v57, v57, v18, v64
	v_fma_f16 v52, v52, v19, -v65
	v_fma_f16 v58, v58, v19, v66
	v_add_f16_e32 v31, v26, v25
	v_sub_f16_e32 v25, v25, v30
	s_waitcnt vmcnt(0)
	v_mul_f16_sdwa v64, v23, v12 dst_sel:DWORD dst_unused:UNUSED_PAD src0_sel:DWORD src1_sel:WORD_1
	v_mul_f16_sdwa v65, v51, v13 dst_sel:DWORD dst_unused:UNUSED_PAD src0_sel:DWORD src1_sel:WORD_1
	;; [unrolled: 1-line block ×3, first 2 shown]
	v_fma_f16 v60, v60, -0.5, v26
	v_fma_f16 v9, v20, -0.5, v9
	v_add_f16_e32 v68, v32, v59
	v_fma_f16 v33, v33, v18, -v63
	v_mul_f16_sdwa v63, v50, v12 dst_sel:DWORD dst_unused:UNUSED_PAD src0_sel:DWORD src1_sel:WORD_1
	v_add_f16_e32 v67, v31, v30
	v_add_f16_e32 v62, v62, v21
	;; [unrolled: 1-line block ×3, first 2 shown]
	v_sub_f16_e32 v69, v54, v55
	v_add_f16_e32 v70, v53, v54
	v_add_f16_e32 v54, v54, v55
	v_fma_f16 v30, v50, v12, v64
	v_fma_f16 v26, v49, v13, -v65
	v_fma_f16 v31, v51, v13, v66
	v_fma_f16 v49, v61, s2, v60
	;; [unrolled: 1-line block ×5, first 2 shown]
	v_fma_f16 v9, v68, -0.5, v27
	v_sub_f16_e32 v32, v32, v59
	v_add_f16_e32 v59, v21, v59
	v_fma_f16 v21, v54, -0.5, v53
	v_fma_f16 v53, v69, s2, v9
	v_fma_f16 v54, v69, s3, v9
	v_add_f16_e32 v9, v33, v52
	v_add_f16_e32 v27, v70, v55
	v_fma_f16 v55, v32, s3, v21
	v_fma_f16 v32, v32, s2, v21
	v_fma_f16 v9, v9, -0.5, v24
	v_sub_f16_e32 v21, v57, v58
	v_fma_f16 v20, v23, v12, -v63
	v_fma_f16 v63, v21, s2, v9
	v_fma_f16 v64, v21, s3, v9
	v_add_f16_e32 v9, v56, v57
	v_add_f16_e32 v65, v9, v58
	;; [unrolled: 1-line block ×4, first 2 shown]
	v_fma_f16 v9, v9, -0.5, v56
	v_sub_f16_e32 v21, v33, v52
	v_add_f16_e32 v61, v71, v52
	v_fma_f16 v33, v21, s3, v9
	v_fma_f16 v52, v21, s2, v9
	v_add_f16_e32 v9, v20, v26
	v_fma_f16 v9, v9, -0.5, v22
	v_sub_f16_e32 v23, v30, v31
	v_fma_f16 v21, v23, s2, v9
	v_fma_f16 v23, v23, s3, v9
	v_add_f16_e32 v9, v30, v31
	v_fma_f16 v9, v9, -0.5, v48
	v_sub_f16_e32 v25, v20, v26
	v_fma_f16 v24, v25, s3, v9
	v_fma_f16 v25, v25, s2, v9
	v_lshl_add_u32 v9, v8, 2, v47
	v_pack_b32_f16 v47, v49, v51
	v_pack_b32_f16 v56, v67, v62
	ds_write_b32 v9, v47 offset:400
	v_pack_b32_f16 v47, v50, v60
	v_pack_b32_f16 v27, v59, v27
	ds_write_b32 v9, v47 offset:800
	ds_write2_b32 v35, v56, v27 offset1:30
	v_pack_b32_f16 v27, v53, v55
	ds_write_b32 v9, v27 offset:520
	v_pack_b32_f16 v27, v54, v32
	ds_write_b32 v9, v27 offset:920
	v_pack_b32_f16 v27, v61, v65
	v_pack_b32_f16 v32, v63, v33
	ds_write2_b32 v35, v27, v32 offset0:60 offset1:160
	v_pack_b32_f16 v27, v64, v52
	ds_write_b32 v35, v27 offset:1040
	s_and_saveexec_b64 s[2:3], vcc
	s_cbranch_execz .LBB0_5
; %bb.4:
	v_add_f16_e32 v27, v48, v30
	v_add_f16_e32 v20, v22, v20
	;; [unrolled: 1-line block ×4, first 2 shown]
	v_pack_b32_f16 v20, v20, v27
	s_mov_b32 s10, 0x5040100
	ds_write_b32 v35, v20 offset:360
	v_perm_b32 v20, v24, v21, s10
	v_perm_b32 v22, v25, v23, s10
	v_add_u32_e32 v26, 0x200, v9
	ds_write2_b32 v26, v20, v22 offset0:62 offset1:162
.LBB0_5:
	s_or_b64 exec, exec, s[2:3]
	s_waitcnt lgkmcnt(0)
	; wave barrier
	s_waitcnt lgkmcnt(0)
	global_load_dword v20, v[28:29], off offset:1200
	s_add_u32 s2, s8, 0x4b0
	s_addc_u32 s3, s9, 0
	v_lshlrev_b32_e32 v22, 2, v8
	global_load_dword v47, v22, s[2:3] offset:120
	global_load_dword v50, v22, s[2:3] offset:240
	;; [unrolled: 1-line block ×9, first 2 shown]
	v_add_u32_e32 v22, 0x200, v35
	ds_read2_b32 v[26:27], v35 offset1:30
	ds_read2_b32 v[28:29], v35 offset0:60 offset1:90
	ds_read2_b32 v[30:31], v35 offset0:120 offset1:150
	;; [unrolled: 1-line block ×4, first 2 shown]
	s_waitcnt lgkmcnt(4)
	v_lshrrev_b32_e32 v58, 16, v26
	v_lshrrev_b32_e32 v59, 16, v27
	s_waitcnt lgkmcnt(3)
	v_lshrrev_b32_e32 v60, 16, v28
	v_lshrrev_b32_e32 v61, 16, v29
	;; [unrolled: 3-line block ×5, first 2 shown]
	s_mov_b32 s10, 0xbb9c
	s_movk_i32 s3, 0x3b9c
	s_mov_b32 s9, 0xb8b4
	s_movk_i32 s2, 0x38b4
	s_movk_i32 s8, 0x34f2
	;; [unrolled: 1-line block ×3, first 2 shown]
	s_mov_b32 s12, 0xb4f2
	s_mov_b32 s13, 0xba79
	s_waitcnt vmcnt(6)
	v_mul_f16_sdwa v70, v61, v51 dst_sel:DWORD dst_unused:UNUSED_PAD src0_sel:DWORD src1_sel:WORD_1
	v_mul_f16_sdwa v71, v29, v51 dst_sel:DWORD dst_unused:UNUSED_PAD src0_sel:DWORD src1_sel:WORD_1
	;; [unrolled: 1-line block ×4, first 2 shown]
	v_fma_f16 v26, v26, v20, -v68
	v_fma_f16 v20, v58, v20, v69
	v_pack_b32_f16 v20, v26, v20
	v_mul_f16_sdwa v26, v59, v47 dst_sel:DWORD dst_unused:UNUSED_PAD src0_sel:DWORD src1_sel:WORD_1
	v_mul_f16_sdwa v58, v27, v47 dst_sel:DWORD dst_unused:UNUSED_PAD src0_sel:DWORD src1_sel:WORD_1
	;; [unrolled: 1-line block ×4, first 2 shown]
	s_waitcnt vmcnt(5)
	v_mul_f16_sdwa v72, v62, v52 dst_sel:DWORD dst_unused:UNUSED_PAD src0_sel:DWORD src1_sel:WORD_1
	v_mul_f16_sdwa v73, v30, v52 dst_sel:DWORD dst_unused:UNUSED_PAD src0_sel:DWORD src1_sel:WORD_1
	s_waitcnt vmcnt(4)
	v_mul_f16_sdwa v74, v63, v53 dst_sel:DWORD dst_unused:UNUSED_PAD src0_sel:DWORD src1_sel:WORD_1
	v_mul_f16_sdwa v75, v31, v53 dst_sel:DWORD dst_unused:UNUSED_PAD src0_sel:DWORD src1_sel:WORD_1
	;; [unrolled: 3-line block ×6, first 2 shown]
	v_fma_f16 v26, v27, v47, -v26
	v_fma_f16 v27, v59, v47, v58
	v_fma_f16 v28, v28, v50, -v68
	v_fma_f16 v47, v60, v50, v69
	;; [unrolled: 2-line block ×9, first 2 shown]
	v_pack_b32_f16 v26, v26, v27
	v_pack_b32_f16 v27, v28, v47
	;; [unrolled: 1-line block ×9, first 2 shown]
	ds_write2_b32 v35, v20, v26 offset1:30
	ds_write2_b32 v35, v27, v28 offset0:60 offset1:90
	ds_write2_b32 v35, v29, v30 offset0:120 offset1:150
	;; [unrolled: 1-line block ×4, first 2 shown]
	s_waitcnt lgkmcnt(0)
	; wave barrier
	s_waitcnt lgkmcnt(0)
	ds_read2_b32 v[26:27], v35 offset1:30
	ds_read2_b32 v[28:29], v35 offset0:120 offset1:150
	ds_read2_b32 v[30:31], v35 offset0:180 offset1:210
	;; [unrolled: 1-line block ×4, first 2 shown]
	s_waitcnt lgkmcnt(0)
	; wave barrier
	s_waitcnt lgkmcnt(0)
	v_add_f16_e32 v20, v28, v30
	v_fma_f16 v20, v20, -0.5, v26
	v_sub_f16_sdwa v47, v32, v48 dst_sel:DWORD dst_unused:UNUSED_PAD src0_sel:WORD_1 src1_sel:WORD_1
	v_fma_f16 v50, v47, s10, v20
	v_sub_f16_sdwa v51, v28, v30 dst_sel:DWORD dst_unused:UNUSED_PAD src0_sel:WORD_1 src1_sel:WORD_1
	v_sub_f16_e32 v52, v48, v30
	v_sub_f16_e32 v53, v32, v28
	v_fma_f16 v20, v47, s3, v20
	v_fma_f16 v50, v51, s9, v50
	v_add_f16_e32 v52, v53, v52
	v_fma_f16 v20, v51, s2, v20
	v_fma_f16 v50, v52, s8, v50
	;; [unrolled: 1-line block ×3, first 2 shown]
	v_add_f16_e32 v52, v32, v48
	v_fma_f16 v52, v52, -0.5, v26
	v_fma_f16 v53, v51, s3, v52
	v_sub_f16_e32 v54, v30, v48
	v_sub_f16_e32 v55, v28, v32
	v_fma_f16 v51, v51, s10, v52
	v_fma_f16 v53, v47, s9, v53
	v_add_f16_e32 v54, v55, v54
	v_fma_f16 v47, v47, s2, v51
	v_pk_add_f16 v51, v26, v32
	v_add_f16_sdwa v52, v28, v30 dst_sel:DWORD dst_unused:UNUSED_PAD src0_sel:WORD_1 src1_sel:WORD_1
	v_lshrrev_b32_e32 v26, 16, v26
	v_fma_f16 v53, v54, s8, v53
	v_fma_f16 v47, v54, s8, v47
	v_fma_f16 v52, v52, -0.5, v26
	v_sub_f16_e32 v54, v32, v48
	v_fma_f16 v55, v54, s3, v52
	v_sub_f16_e32 v56, v28, v30
	v_sub_f16_sdwa v57, v32, v28 dst_sel:DWORD dst_unused:UNUSED_PAD src0_sel:WORD_1 src1_sel:WORD_1
	v_sub_f16_sdwa v58, v48, v30 dst_sel:DWORD dst_unused:UNUSED_PAD src0_sel:WORD_1 src1_sel:WORD_1
	v_fma_f16 v52, v54, s10, v52
	v_fma_f16 v55, v56, s2, v55
	v_add_f16_e32 v57, v57, v58
	v_fma_f16 v52, v56, s9, v52
	v_fma_f16 v55, v57, s8, v55
	;; [unrolled: 1-line block ×3, first 2 shown]
	v_add_f16_sdwa v57, v32, v48 dst_sel:DWORD dst_unused:UNUSED_PAD src0_sel:WORD_1 src1_sel:WORD_1
	v_pk_add_f16 v51, v51, v28
	v_fma_f16 v26, v57, -0.5, v26
	v_pk_add_f16 v51, v51, v30
	v_fma_f16 v57, v56, s10, v26
	v_sub_f16_sdwa v28, v28, v32 dst_sel:DWORD dst_unused:UNUSED_PAD src0_sel:WORD_1 src1_sel:WORD_1
	v_sub_f16_sdwa v30, v30, v48 dst_sel:DWORD dst_unused:UNUSED_PAD src0_sel:WORD_1 src1_sel:WORD_1
	v_fma_f16 v26, v56, s3, v26
	v_fma_f16 v57, v54, s2, v57
	v_add_f16_e32 v28, v28, v30
	v_fma_f16 v26, v54, s9, v26
	v_fma_f16 v30, v28, s8, v57
	;; [unrolled: 1-line block ×3, first 2 shown]
	v_add_f16_e32 v26, v29, v31
	v_fma_f16 v26, v26, -0.5, v27
	v_sub_f16_sdwa v32, v33, v49 dst_sel:DWORD dst_unused:UNUSED_PAD src0_sel:WORD_1 src1_sel:WORD_1
	v_pk_add_f16 v51, v51, v48
	v_fma_f16 v48, v32, s10, v26
	v_sub_f16_sdwa v54, v29, v31 dst_sel:DWORD dst_unused:UNUSED_PAD src0_sel:WORD_1 src1_sel:WORD_1
	v_sub_f16_e32 v56, v49, v31
	v_sub_f16_e32 v57, v33, v29
	v_fma_f16 v26, v32, s3, v26
	v_fma_f16 v48, v54, s9, v48
	v_add_f16_e32 v56, v57, v56
	v_fma_f16 v26, v54, s2, v26
	v_fma_f16 v48, v56, s8, v48
	;; [unrolled: 1-line block ×3, first 2 shown]
	v_add_f16_e32 v26, v33, v49
	v_fma_f16 v26, v26, -0.5, v27
	v_fma_f16 v57, v54, s3, v26
	v_sub_f16_e32 v58, v31, v49
	v_sub_f16_e32 v59, v29, v33
	v_fma_f16 v26, v54, s10, v26
	v_add_f16_e32 v58, v59, v58
	v_fma_f16 v26, v32, s2, v26
	v_fma_f16 v57, v32, s9, v57
	;; [unrolled: 1-line block ×3, first 2 shown]
	v_pk_add_f16 v26, v27, v33
	v_lshrrev_b32_e32 v27, 16, v27
	v_pk_add_f16 v26, v26, v29
	v_fma_f16 v57, v58, s8, v57
	v_pk_add_f16 v26, v26, v31
	v_sub_f16_e32 v58, v33, v49
	v_pk_add_f16 v54, v26, v49
	v_add_f16_sdwa v26, v29, v31 dst_sel:DWORD dst_unused:UNUSED_PAD src0_sel:WORD_1 src1_sel:WORD_1
	v_fma_f16 v26, v26, -0.5, v27
	v_fma_f16 v59, v58, s3, v26
	v_sub_f16_e32 v60, v29, v31
	v_sub_f16_sdwa v61, v33, v29 dst_sel:DWORD dst_unused:UNUSED_PAD src0_sel:WORD_1 src1_sel:WORD_1
	v_sub_f16_sdwa v62, v49, v31 dst_sel:DWORD dst_unused:UNUSED_PAD src0_sel:WORD_1 src1_sel:WORD_1
	v_fma_f16 v26, v58, s10, v26
	v_fma_f16 v59, v60, s2, v59
	v_add_f16_e32 v61, v61, v62
	v_fma_f16 v26, v60, s9, v26
	v_fma_f16 v59, v61, s8, v59
	;; [unrolled: 1-line block ×3, first 2 shown]
	v_add_f16_sdwa v26, v33, v49 dst_sel:DWORD dst_unused:UNUSED_PAD src0_sel:WORD_1 src1_sel:WORD_1
	v_fma_f16 v26, v26, -0.5, v27
	v_fma_f16 v27, v60, s10, v26
	v_sub_f16_sdwa v29, v29, v33 dst_sel:DWORD dst_unused:UNUSED_PAD src0_sel:WORD_1 src1_sel:WORD_1
	v_sub_f16_sdwa v31, v31, v49 dst_sel:DWORD dst_unused:UNUSED_PAD src0_sel:WORD_1 src1_sel:WORD_1
	v_fma_f16 v26, v60, s3, v26
	v_fma_f16 v27, v58, s2, v27
	v_add_f16_e32 v29, v29, v31
	v_fma_f16 v26, v58, s9, v26
	v_fma_f16 v27, v29, s8, v27
	;; [unrolled: 1-line block ×3, first 2 shown]
	v_mul_f16_e32 v26, 0xb8b4, v59
	v_fma_f16 v31, v48, s11, v26
	v_mul_f16_e32 v26, 0xbb9c, v27
	v_fma_f16 v49, v57, s8, v26
	v_mul_f16_e32 v26, 0xbb9c, v29
	v_mul_f16_e32 v48, 0x38b4, v48
	;; [unrolled: 1-line block ×4, first 2 shown]
	v_fma_f16 v60, v32, s12, v26
	v_mul_f16_e32 v26, 0xb8b4, v61
	v_fma_f16 v48, v59, s11, v48
	v_fma_f16 v27, v57, s3, v27
	;; [unrolled: 1-line block ×3, first 2 shown]
	v_mul_f16_e32 v61, 0xba79, v61
	v_add_f16_e32 v33, v50, v31
	v_add_f16_e32 v58, v53, v49
	;; [unrolled: 1-line block ×3, first 2 shown]
	v_fma_f16 v63, v56, s13, v26
	v_add_f16_e32 v59, v55, v48
	v_add_f16_e32 v57, v30, v27
	;; [unrolled: 1-line block ×3, first 2 shown]
	v_fma_f16 v56, v56, s2, v61
	v_add_f16_e32 v64, v20, v63
	v_pk_add_f16 v26, v51, v54
	v_add_f16_e32 v61, v52, v56
	v_sub_f16_e32 v31, v50, v31
	v_sub_f16_e32 v49, v53, v49
	;; [unrolled: 1-line block ×5, first 2 shown]
	v_pack_b32_f16 v29, v62, v32
	v_pack_b32_f16 v28, v58, v57
	;; [unrolled: 1-line block ×3, first 2 shown]
	v_sub_f16_e32 v47, v47, v60
	v_sub_f16_e32 v20, v20, v63
	;; [unrolled: 1-line block ×3, first 2 shown]
	ds_write2_b64 v44, v[26:27], v[28:29] offset1:1
	v_pk_add_f16 v27, v51, v54 neg_lo:[0,1] neg_hi:[0,1]
	v_pack_b32_f16 v29, v49, v30
	v_pack_b32_f16 v28, v31, v48
	;; [unrolled: 1-line block ×3, first 2 shown]
	ds_write2_b64 v44, v[26:27], v[28:29] offset0:2 offset1:3
	v_pack_b32_f16 v27, v20, v52
	v_pack_b32_f16 v26, v47, v50
	ds_write_b64 v44, v[26:27] offset:32
	s_waitcnt lgkmcnt(0)
	; wave barrier
	s_waitcnt lgkmcnt(0)
	ds_read2_b32 v[26:27], v35 offset1:30
	ds_read2_b32 v[28:29], v35 offset0:60 offset1:90
	ds_read2_b32 v[30:31], v35 offset0:120 offset1:150
	;; [unrolled: 1-line block ×4, first 2 shown]
	s_waitcnt lgkmcnt(4)
	v_lshrrev_b32_e32 v44, 16, v27
	v_mul_f16_sdwa v56, v0, v44 dst_sel:DWORD dst_unused:UNUSED_PAD src0_sel:WORD_1 src1_sel:DWORD
	s_waitcnt lgkmcnt(3)
	v_lshrrev_b32_e32 v47, 16, v28
	v_fma_f16 v56, v0, v27, v56
	v_mul_f16_sdwa v27, v0, v27 dst_sel:DWORD dst_unused:UNUSED_PAD src0_sel:WORD_1 src1_sel:DWORD
	v_fma_f16 v0, v0, v44, -v27
	v_mul_f16_sdwa v27, v1, v47 dst_sel:DWORD dst_unused:UNUSED_PAD src0_sel:WORD_1 src1_sel:DWORD
	v_lshrrev_b32_e32 v50, 16, v29
	v_fma_f16 v27, v1, v28, v27
	v_mul_f16_sdwa v28, v1, v28 dst_sel:DWORD dst_unused:UNUSED_PAD src0_sel:WORD_1 src1_sel:DWORD
	v_fma_f16 v1, v1, v47, -v28
	v_mul_f16_sdwa v28, v2, v50 dst_sel:DWORD dst_unused:UNUSED_PAD src0_sel:WORD_1 src1_sel:DWORD
	s_waitcnt lgkmcnt(2)
	v_lshrrev_b32_e32 v22, 16, v30
	v_fma_f16 v28, v2, v29, v28
	v_mul_f16_sdwa v29, v2, v29 dst_sel:DWORD dst_unused:UNUSED_PAD src0_sel:WORD_1 src1_sel:DWORD
	v_fma_f16 v2, v2, v50, -v29
	v_mul_f16_sdwa v29, v3, v22 dst_sel:DWORD dst_unused:UNUSED_PAD src0_sel:WORD_1 src1_sel:DWORD
	v_lshrrev_b32_e32 v51, 16, v31
	v_fma_f16 v29, v3, v30, v29
	v_mul_f16_sdwa v30, v3, v30 dst_sel:DWORD dst_unused:UNUSED_PAD src0_sel:WORD_1 src1_sel:DWORD
	s_waitcnt lgkmcnt(1)
	v_lshrrev_b32_e32 v52, 16, v32
	v_fma_f16 v3, v3, v22, -v30
	v_mul_f16_sdwa v22, v4, v51 dst_sel:DWORD dst_unused:UNUSED_PAD src0_sel:WORD_1 src1_sel:DWORD
	v_mul_f16_sdwa v30, v4, v31 dst_sel:DWORD dst_unused:UNUSED_PAD src0_sel:WORD_1 src1_sel:DWORD
	v_lshrrev_b32_e32 v53, 16, v33
	v_fma_f16 v22, v4, v31, v22
	v_fma_f16 v4, v4, v51, -v30
	v_mul_f16_sdwa v30, v5, v52 dst_sel:DWORD dst_unused:UNUSED_PAD src0_sel:WORD_1 src1_sel:DWORD
	v_mul_f16_sdwa v31, v5, v32 dst_sel:DWORD dst_unused:UNUSED_PAD src0_sel:WORD_1 src1_sel:DWORD
	s_waitcnt lgkmcnt(0)
	v_lshrrev_b32_e32 v54, 16, v48
	v_fma_f16 v30, v5, v32, v30
	v_fma_f16 v5, v5, v52, -v31
	v_mul_f16_sdwa v31, v6, v53 dst_sel:DWORD dst_unused:UNUSED_PAD src0_sel:WORD_1 src1_sel:DWORD
	v_mul_f16_sdwa v32, v6, v33 dst_sel:DWORD dst_unused:UNUSED_PAD src0_sel:WORD_1 src1_sel:DWORD
	v_fma_f16 v31, v6, v33, v31
	v_fma_f16 v6, v6, v53, -v32
	v_mul_f16_sdwa v32, v7, v54 dst_sel:DWORD dst_unused:UNUSED_PAD src0_sel:WORD_1 src1_sel:DWORD
	v_mul_f16_sdwa v33, v7, v48 dst_sel:DWORD dst_unused:UNUSED_PAD src0_sel:WORD_1 src1_sel:DWORD
	v_lshrrev_b32_e32 v55, 16, v49
	v_fma_f16 v32, v7, v48, v32
	v_fma_f16 v7, v7, v54, -v33
	v_add_f16_e32 v47, v29, v30
	v_mul_f16_sdwa v33, v45, v55 dst_sel:DWORD dst_unused:UNUSED_PAD src0_sel:WORD_1 src1_sel:DWORD
	v_fma_f16 v47, v47, -0.5, v26
	v_sub_f16_e32 v48, v1, v7
	v_fma_f16 v33, v45, v49, v33
	v_mul_f16_sdwa v44, v45, v49 dst_sel:DWORD dst_unused:UNUSED_PAD src0_sel:WORD_1 src1_sel:DWORD
	v_fma_f16 v49, v48, s10, v47
	v_sub_f16_e32 v50, v3, v5
	v_sub_f16_e32 v51, v27, v29
	;; [unrolled: 1-line block ×3, first 2 shown]
	v_fma_f16 v47, v48, s3, v47
	v_fma_f16 v49, v50, s9, v49
	v_add_f16_e32 v51, v51, v52
	v_fma_f16 v47, v50, s2, v47
	v_fma_f16 v49, v51, s8, v49
	v_fma_f16 v47, v51, s8, v47
	v_add_f16_e32 v51, v27, v32
	v_lshrrev_b32_e32 v20, 16, v26
	v_fma_f16 v44, v45, v55, -v44
	v_add_f16_e32 v45, v26, v27
	v_fma_f16 v26, v51, -0.5, v26
	v_add_f16_e32 v45, v45, v29
	v_fma_f16 v51, v50, s3, v26
	v_fma_f16 v26, v50, s10, v26
	v_add_f16_e32 v50, v3, v5
	v_add_f16_e32 v45, v45, v30
	v_sub_f16_e32 v52, v29, v27
	v_sub_f16_e32 v53, v30, v32
	v_fma_f16 v50, v50, -0.5, v20
	v_sub_f16_e32 v27, v27, v32
	v_add_f16_e32 v45, v45, v32
	v_fma_f16 v51, v48, s9, v51
	v_add_f16_e32 v52, v52, v53
	v_fma_f16 v26, v48, s2, v26
	v_fma_f16 v32, v27, s3, v50
	v_sub_f16_e32 v29, v29, v30
	v_fma_f16 v51, v52, s8, v51
	v_fma_f16 v26, v52, s8, v26
	;; [unrolled: 1-line block ×3, first 2 shown]
	v_sub_f16_e32 v32, v1, v3
	v_sub_f16_e32 v52, v7, v5
	v_fma_f16 v50, v27, s10, v50
	v_add_f16_e32 v48, v20, v1
	v_add_f16_e32 v32, v32, v52
	v_fma_f16 v50, v29, s9, v50
	v_add_f16_e32 v48, v48, v3
	v_fma_f16 v30, v32, s8, v30
	v_fma_f16 v32, v32, s8, v50
	v_add_f16_e32 v50, v1, v7
	v_add_f16_e32 v48, v48, v5
	v_fma_f16 v20, v50, -0.5, v20
	v_add_f16_e32 v48, v48, v7
	v_fma_f16 v50, v29, s10, v20
	v_sub_f16_e32 v1, v3, v1
	v_sub_f16_e32 v3, v5, v7
	v_add_f16_e32 v7, v22, v31
	v_fma_f16 v50, v27, s2, v50
	v_add_f16_e32 v1, v1, v3
	v_fma_f16 v5, v29, s3, v20
	v_fma_f16 v7, v7, -0.5, v56
	v_sub_f16_e32 v20, v2, v44
	v_fma_f16 v3, v1, s8, v50
	v_fma_f16 v5, v27, s9, v5
	;; [unrolled: 1-line block ×3, first 2 shown]
	v_sub_f16_e32 v29, v4, v6
	v_sub_f16_e32 v50, v28, v22
	v_sub_f16_e32 v52, v33, v31
	v_fma_f16 v7, v20, s3, v7
	v_fma_f16 v27, v29, s9, v27
	v_add_f16_e32 v50, v50, v52
	v_fma_f16 v7, v29, s2, v7
	v_fma_f16 v27, v50, s8, v27
	;; [unrolled: 1-line block ×3, first 2 shown]
	v_add_f16_e32 v50, v28, v33
	v_fma_f16 v1, v1, s8, v5
	v_add_f16_e32 v5, v56, v28
	v_fma_f16 v50, v50, -0.5, v56
	v_add_f16_e32 v5, v5, v22
	v_fma_f16 v52, v29, s3, v50
	v_fma_f16 v29, v29, s10, v50
	v_add_f16_e32 v50, v4, v6
	v_add_f16_e32 v5, v5, v31
	v_sub_f16_e32 v53, v22, v28
	v_sub_f16_e32 v54, v31, v33
	v_fma_f16 v50, v50, -0.5, v0
	v_sub_f16_e32 v28, v28, v33
	v_add_f16_e32 v5, v5, v33
	v_fma_f16 v52, v20, s9, v52
	v_add_f16_e32 v53, v53, v54
	v_fma_f16 v20, v20, s2, v29
	v_fma_f16 v33, v28, s3, v50
	v_sub_f16_e32 v22, v22, v31
	v_fma_f16 v52, v53, s8, v52
	v_fma_f16 v20, v53, s8, v20
	;; [unrolled: 1-line block ×3, first 2 shown]
	v_sub_f16_e32 v33, v2, v4
	v_sub_f16_e32 v53, v44, v6
	v_fma_f16 v50, v28, s10, v50
	v_add_f16_e32 v33, v33, v53
	v_fma_f16 v50, v22, s9, v50
	v_fma_f16 v31, v33, s8, v31
	;; [unrolled: 1-line block ×3, first 2 shown]
	v_add_f16_e32 v50, v2, v44
	v_add_f16_e32 v29, v0, v2
	v_fma_f16 v0, v50, -0.5, v0
	v_add_f16_e32 v29, v29, v4
	v_fma_f16 v50, v22, s10, v0
	v_sub_f16_e32 v2, v4, v2
	v_sub_f16_e32 v4, v6, v44
	v_fma_f16 v0, v22, s3, v0
	v_fma_f16 v50, v28, s2, v50
	v_add_f16_e32 v2, v2, v4
	v_fma_f16 v0, v28, s9, v0
	v_add_f16_e32 v29, v29, v6
	v_fma_f16 v4, v2, s8, v50
	v_fma_f16 v0, v2, s8, v0
	v_mul_f16_e32 v6, 0xb8b4, v31
	v_mul_f16_e32 v31, 0x3a79, v31
	v_add_f16_e32 v29, v29, v44
	v_fma_f16 v6, v27, s11, v6
	v_mul_f16_e32 v22, 0xbb9c, v4
	v_mul_f16_e32 v50, 0xbb9c, v0
	v_fma_f16 v27, v27, s2, v31
	v_mul_f16_e32 v4, 0x34f2, v4
	v_mul_f16_e32 v0, 0xb4f2, v0
	v_add_f16_e32 v2, v45, v5
	v_add_f16_e32 v28, v49, v6
	v_fma_f16 v22, v52, s8, v22
	v_fma_f16 v50, v20, s12, v50
	v_mul_f16_e32 v54, 0xb8b4, v33
	v_add_f16_e32 v56, v48, v29
	v_add_f16_e32 v31, v30, v27
	v_fma_f16 v4, v52, s3, v4
	v_fma_f16 v0, v20, s3, v0
	v_mul_f16_e32 v20, 0xba79, v33
	v_add_f16_e32 v44, v51, v22
	v_add_f16_e32 v53, v26, v50
	v_fma_f16 v54, v7, s13, v54
	v_add_f16_e32 v52, v3, v4
	v_add_f16_e32 v57, v1, v0
	v_fma_f16 v7, v7, s2, v20
	v_sub_f16_e32 v0, v1, v0
	v_pack_b32_f16 v1, v2, v56
	v_pack_b32_f16 v2, v28, v31
	v_add_f16_e32 v55, v47, v54
	v_add_f16_e32 v33, v32, v7
	v_sub_f16_e32 v5, v45, v5
	v_sub_f16_e32 v29, v48, v29
	s_waitcnt lgkmcnt(0)
	; wave barrier
	ds_write2_b32 v46, v1, v2 offset1:10
	v_pack_b32_f16 v1, v44, v52
	v_pack_b32_f16 v2, v53, v57
	v_sub_f16_e32 v6, v49, v6
	v_sub_f16_e32 v45, v51, v22
	;; [unrolled: 1-line block ×4, first 2 shown]
	ds_write2_b32 v46, v1, v2 offset0:20 offset1:30
	v_pack_b32_f16 v1, v55, v33
	v_pack_b32_f16 v2, v5, v29
	v_sub_f16_e32 v26, v26, v50
	v_sub_f16_e32 v20, v47, v54
	;; [unrolled: 1-line block ×3, first 2 shown]
	ds_write2_b32 v46, v1, v2 offset0:40 offset1:50
	v_pack_b32_f16 v1, v6, v27
	v_pack_b32_f16 v2, v45, v3
	ds_write2_b32 v46, v1, v2 offset0:60 offset1:70
	v_pack_b32_f16 v0, v26, v0
	v_pack_b32_f16 v1, v20, v22
	ds_write2_b32 v46, v0, v1 offset0:80 offset1:90
	s_waitcnt lgkmcnt(0)
	; wave barrier
	s_waitcnt lgkmcnt(0)
	ds_read2_b32 v[2:3], v35 offset1:30
	ds_read2_b32 v[0:1], v35 offset0:60 offset1:100
	ds_read2_b32 v[6:7], v35 offset0:200 offset1:230
	;; [unrolled: 1-line block ×3, first 2 shown]
	ds_read_b32 v27, v35 offset:1040
	v_add_u32_e32 v26, 0xf0, v35
	s_and_saveexec_b64 s[2:3], vcc
	s_cbranch_execz .LBB0_7
; %bb.6:
	ds_read2_b32 v[20:21], v35 offset0:90 offset1:190
	ds_read_b32 v23, v35 offset:1160
	s_waitcnt lgkmcnt(1)
	v_lshrrev_b32_e32 v22, 16, v20
	v_lshrrev_b32_e32 v24, 16, v21
	s_waitcnt lgkmcnt(0)
	v_lshrrev_b32_e32 v25, 16, v23
.LBB0_7:
	s_or_b64 exec, exec, s[2:3]
	s_waitcnt lgkmcnt(3)
	v_lshrrev_b32_e32 v29, 16, v1
	v_mul_f16_sdwa v47, v14, v29 dst_sel:DWORD dst_unused:UNUSED_PAD src0_sel:WORD_1 src1_sel:DWORD
	s_waitcnt lgkmcnt(2)
	v_lshrrev_b32_e32 v30, 16, v6
	v_fma_f16 v47, v14, v1, v47
	v_mul_f16_sdwa v1, v14, v1 dst_sel:DWORD dst_unused:UNUSED_PAD src0_sel:WORD_1 src1_sel:DWORD
	v_fma_f16 v1, v14, v29, -v1
	v_mul_f16_sdwa v14, v15, v30 dst_sel:DWORD dst_unused:UNUSED_PAD src0_sel:WORD_1 src1_sel:DWORD
	s_waitcnt lgkmcnt(1)
	v_lshrrev_b32_e32 v32, 16, v4
	v_fma_f16 v14, v15, v6, v14
	v_mul_f16_sdwa v6, v15, v6 dst_sel:DWORD dst_unused:UNUSED_PAD src0_sel:WORD_1 src1_sel:DWORD
	v_fma_f16 v6, v15, v30, -v6
	v_mul_f16_sdwa v15, v16, v32 dst_sel:DWORD dst_unused:UNUSED_PAD src0_sel:WORD_1 src1_sel:DWORD
	v_lshrrev_b32_e32 v33, 16, v7
	v_fma_f16 v15, v16, v4, v15
	v_mul_f16_sdwa v4, v16, v4 dst_sel:DWORD dst_unused:UNUSED_PAD src0_sel:WORD_1 src1_sel:DWORD
	v_fma_f16 v4, v16, v32, -v4
	v_mul_f16_sdwa v16, v17, v33 dst_sel:DWORD dst_unused:UNUSED_PAD src0_sel:WORD_1 src1_sel:DWORD
	;; [unrolled: 5-line block ×3, first 2 shown]
	s_waitcnt lgkmcnt(0)
	v_lshrrev_b32_e32 v46, 16, v27
	v_fma_f16 v17, v18, v5, v17
	v_mul_f16_sdwa v5, v18, v5 dst_sel:DWORD dst_unused:UNUSED_PAD src0_sel:WORD_1 src1_sel:DWORD
	v_fma_f16 v5, v18, v45, -v5
	v_mul_f16_sdwa v18, v19, v46 dst_sel:DWORD dst_unused:UNUSED_PAD src0_sel:WORD_1 src1_sel:DWORD
	v_fma_f16 v18, v19, v27, v18
	v_mul_f16_sdwa v27, v19, v27 dst_sel:DWORD dst_unused:UNUSED_PAD src0_sel:WORD_1 src1_sel:DWORD
	v_add_f16_e32 v29, v47, v14
	v_lshrrev_b32_e32 v28, 16, v2
	v_fma_f16 v19, v19, v46, -v27
	v_add_f16_e32 v27, v2, v47
	v_fma_f16 v2, v29, -0.5, v2
	v_sub_f16_e32 v29, v1, v6
	s_mov_b32 s8, 0xbaee
	s_movk_i32 s9, 0x3aee
	v_fma_f16 v30, v29, s8, v2
	v_fma_f16 v2, v29, s9, v2
	v_add_f16_e32 v29, v28, v1
	v_add_f16_e32 v1, v1, v6
	;; [unrolled: 1-line block ×3, first 2 shown]
	v_fma_f16 v1, v1, -0.5, v28
	v_sub_f16_e32 v6, v47, v14
	v_add_f16_e32 v28, v15, v16
	v_lshrrev_b32_e32 v31, 16, v3
	v_add_f16_e32 v27, v27, v14
	v_fma_f16 v14, v6, s9, v1
	v_fma_f16 v1, v6, s8, v1
	v_add_f16_e32 v6, v3, v15
	v_fma_f16 v3, v28, -0.5, v3
	v_sub_f16_e32 v28, v4, v7
	v_fma_f16 v32, v28, s8, v3
	v_fma_f16 v3, v28, s9, v3
	v_add_f16_e32 v28, v31, v4
	v_add_f16_e32 v4, v4, v7
	;; [unrolled: 1-line block ×4, first 2 shown]
	v_fma_f16 v4, v4, -0.5, v31
	v_sub_f16_e32 v7, v15, v16
	v_add_f16_e32 v16, v17, v18
	v_lshrrev_b32_e32 v44, 16, v0
	v_fma_f16 v15, v7, s9, v4
	v_fma_f16 v4, v7, s8, v4
	v_add_f16_e32 v7, v0, v17
	v_fma_f16 v0, v16, -0.5, v0
	v_sub_f16_e32 v16, v5, v19
	v_fma_f16 v31, v16, s8, v0
	v_fma_f16 v0, v16, s9, v0
	v_add_f16_e32 v16, v44, v5
	v_add_f16_e32 v5, v5, v19
	v_fma_f16 v5, v5, -0.5, v44
	v_sub_f16_e32 v17, v17, v18
	v_add_f16_e32 v7, v7, v18
	v_fma_f16 v18, v17, s9, v5
	v_fma_f16 v5, v17, s8, v5
	v_pack_b32_f16 v17, v27, v29
	v_pack_b32_f16 v1, v2, v1
	ds_write_b32 v35, v17
	v_pack_b32_f16 v14, v30, v14
	ds_write_b32 v9, v1 offset:800
	v_pack_b32_f16 v1, v6, v28
	ds_write_b32 v9, v14 offset:400
	ds_write_b32 v35, v1 offset:120
	v_pack_b32_f16 v1, v32, v15
	v_add_f16_e32 v16, v16, v19
	ds_write_b32 v9, v1 offset:520
	v_pack_b32_f16 v1, v3, v4
	ds_write_b32 v9, v1 offset:920
	v_pack_b32_f16 v1, v7, v16
	;; [unrolled: 2-line block ×3, first 2 shown]
	v_pack_b32_f16 v0, v0, v5
	ds_write2_b32 v26, v1, v0 offset0:100 offset1:200
	s_and_saveexec_b64 s[2:3], vcc
	s_cbranch_execz .LBB0_9
; %bb.8:
	v_mul_f16_sdwa v0, v12, v21 dst_sel:DWORD dst_unused:UNUSED_PAD src0_sel:WORD_1 src1_sel:DWORD
	v_mul_f16_sdwa v1, v13, v23 dst_sel:DWORD dst_unused:UNUSED_PAD src0_sel:WORD_1 src1_sel:DWORD
	v_fma_f16 v0, v12, v24, -v0
	v_fma_f16 v1, v13, v25, -v1
	v_mul_f16_sdwa v3, v12, v24 dst_sel:DWORD dst_unused:UNUSED_PAD src0_sel:WORD_1 src1_sel:DWORD
	v_mul_f16_sdwa v4, v13, v25 dst_sel:DWORD dst_unused:UNUSED_PAD src0_sel:WORD_1 src1_sel:DWORD
	v_add_f16_e32 v2, v0, v1
	v_fma_f16 v3, v12, v21, v3
	v_fma_f16 v4, v13, v23, v4
	v_fma_f16 v2, v2, -0.5, v22
	v_sub_f16_e32 v5, v3, v4
	v_add_f16_e32 v7, v3, v4
	v_fma_f16 v6, v5, s8, v2
	v_fma_f16 v2, v5, s9, v2
	v_add_f16_e32 v5, v22, v0
	v_fma_f16 v7, v7, -0.5, v20
	v_sub_f16_e32 v0, v0, v1
	v_add_f16_e32 v3, v20, v3
	v_add_f16_e32 v5, v5, v1
	v_fma_f16 v1, v0, s9, v7
	v_fma_f16 v0, v0, s8, v7
	v_add_f16_e32 v3, v3, v4
	v_pack_b32_f16 v3, v3, v5
	v_pack_b32_f16 v0, v0, v2
	;; [unrolled: 1-line block ×3, first 2 shown]
	v_add_u32_e32 v2, 0x200, v9
	ds_write_b32 v35, v3 offset:360
	ds_write2_b32 v2, v0, v1 offset0:62 offset1:162
.LBB0_9:
	s_or_b64 exec, exec, s[2:3]
	s_waitcnt lgkmcnt(0)
	; wave barrier
	s_waitcnt lgkmcnt(0)
	ds_read2_b32 v[4:5], v35 offset1:30
	v_mov_b32_e32 v2, s0
	v_mov_b32_e32 v3, s1
	v_mad_u64_u32 v[6:7], s[0:1], s6, v10, 0
	s_waitcnt lgkmcnt(0)
	v_lshrrev_b32_e32 v9, 16, v4
	v_mul_f16_sdwa v1, v43, v9 dst_sel:DWORD dst_unused:UNUSED_PAD src0_sel:WORD_1 src1_sel:DWORD
	v_fma_f16 v1, v43, v4, v1
	v_cvt_f32_f16_e32 v12, v1
	v_mov_b32_e32 v0, v7
	v_mad_u64_u32 v[0:1], s[0:1], s7, v10, v[0:1]
	s_mov_b32 s2, 0xb4e81b4f
	v_mov_b32_e32 v7, v0
	v_cvt_f64_f32_e32 v[0:1], v12
	s_mov_b32 s3, 0x3f6b4e81
	v_mul_f64 v[0:1], v[0:1], s[2:3]
	s_movk_i32 s6, 0x1ff
	v_and_or_b32 v0, v1, s6, v0
	v_cmp_ne_u32_e32 vcc, 0, v0
	v_lshrrev_b32_e32 v10, 8, v1
	s_movk_i32 s7, 0xffe
	v_cndmask_b32_e64 v0, 0, 1, vcc
	v_bfe_u32 v12, v1, 20, 11
	v_and_or_b32 v10, v10, s7, v0
	v_sub_u32_e32 v13, 0x3f1, v12
	v_or_b32_e32 v0, 0x1000, v10
	v_med3_i32 v13, v13, 0, 13
	v_lshrrev_b32_e32 v14, v13, v0
	v_lshlrev_b32_e32 v13, v13, v14
	v_cmp_ne_u32_e32 vcc, v13, v0
	v_add_u32_e32 v12, 0xfffffc10, v12
	v_lshl_or_b32 v13, v12, 12, v10
	v_cndmask_b32_e64 v0, 0, 1, vcc
	v_or_b32_e32 v0, v14, v0
	v_cmp_gt_i32_e32 vcc, 1, v12
	v_mul_f16_sdwa v4, v43, v4 dst_sel:DWORD dst_unused:UNUSED_PAD src0_sel:WORD_1 src1_sel:DWORD
	v_fma_f16 v4, v43, v9, -v4
	v_cndmask_b32_e32 v0, v13, v0, vcc
	v_and_b32_e32 v13, 7, v0
	v_cmp_lt_i32_e32 vcc, 5, v13
	v_cmp_eq_u32_e64 s[0:1], 3, v13
	v_lshrrev_b32_e32 v0, 2, v0
	s_or_b64 vcc, s[0:1], vcc
	v_addc_co_u32_e32 v13, vcc, 0, v0, vcc
	v_mov_b32_e32 v0, 0x7c00
	v_cmp_gt_i32_e32 vcc, 31, v12
	v_cvt_f32_f16_e32 v4, v4
	s_movk_i32 s8, 0x40f
	v_cndmask_b32_e32 v13, v0, v13, vcc
	v_cmp_ne_u32_e32 vcc, 0, v10
	s_mov_b32 s9, 0x8000
	v_and_b32_sdwa v1, v1, s9 dst_sel:DWORD dst_unused:UNUSED_PAD src0_sel:WORD_1 src1_sel:DWORD
	v_cndmask_b32_e64 v10, 0, 1, vcc
	v_lshl_or_b32 v10, v10, 9, v0
	v_cmp_eq_u32_e32 vcc, s8, v12
	s_mov_b32 s10, 0xffff
	v_lshl_add_u64 v[2:3], v[6:7], 2, v[2:3]
	v_cndmask_b32_e32 v10, v13, v10, vcc
	v_cvt_f64_f32_e32 v[12:13], v4
	v_mul_f64 v[12:13], v[12:13], s[2:3]
	v_and_or_b32 v4, v13, s6, v12
	v_cmp_ne_u32_e32 vcc, 0, v4
	v_lshrrev_b32_e32 v9, 8, v13
	v_bfe_u32 v12, v13, 20, 11
	v_cndmask_b32_e64 v4, 0, 1, vcc
	v_and_or_b32 v4, v9, s7, v4
	v_sub_u32_e32 v14, 0x3f1, v12
	v_or_b32_e32 v9, 0x1000, v4
	v_med3_i32 v14, v14, 0, 13
	v_lshrrev_b32_e32 v15, v14, v9
	v_lshlrev_b32_e32 v14, v14, v15
	v_cmp_ne_u32_e32 vcc, v14, v9
	v_add_u32_e32 v12, 0xfffffc10, v12
	v_lshl_or_b32 v14, v12, 12, v4
	v_cndmask_b32_e64 v9, 0, 1, vcc
	v_or_b32_e32 v9, v15, v9
	v_cmp_gt_i32_e32 vcc, 1, v12
	v_bitop3_b32 v1, v1, s10, v10 bitop3:0xc8
	s_nop 0
	v_cndmask_b32_e32 v9, v14, v9, vcc
	v_and_b32_e32 v14, 7, v9
	v_cmp_lt_i32_e32 vcc, 5, v14
	v_cmp_eq_u32_e64 s[0:1], 3, v14
	v_lshrrev_b32_e32 v9, 2, v9
	s_or_b64 vcc, s[0:1], vcc
	v_addc_co_u32_e32 v9, vcc, 0, v9, vcc
	v_cmp_gt_i32_e32 vcc, 31, v12
	s_nop 1
	v_cndmask_b32_e32 v9, v0, v9, vcc
	v_cmp_ne_u32_e32 vcc, 0, v4
	s_nop 1
	v_cndmask_b32_e64 v4, 0, 1, vcc
	v_lshl_or_b32 v4, v4, 9, v0
	v_cmp_eq_u32_e32 vcc, s8, v12
	s_nop 1
	v_cndmask_b32_e32 v4, v9, v4, vcc
	v_lshrrev_b32_e32 v9, 16, v13
	v_mad_u64_u32 v[12:13], s[0:1], s4, v8, 0
	v_and_or_b32 v14, v9, s9, v4
	v_mov_b32_e32 v4, v13
	v_mad_u64_u32 v[8:9], s[0:1], s5, v8, v[4:5]
	v_lshrrev_b32_e32 v4, 16, v5
	v_mov_b32_e32 v13, v8
	v_mul_f16_sdwa v8, v42, v4 dst_sel:DWORD dst_unused:UNUSED_PAD src0_sel:WORD_1 src1_sel:DWORD
	v_fma_f16 v8, v42, v5, v8
	v_cvt_f32_f16_e32 v8, v8
	v_lshl_or_b32 v1, v14, 16, v1
	v_lshl_add_u64 v[2:3], v[12:13], 2, v[2:3]
	global_store_dword v[2:3], v1, off
	v_cvt_f64_f32_e32 v[6:7], v8
	v_mul_f64 v[6:7], v[6:7], s[2:3]
	v_and_or_b32 v1, v7, s6, v6
	v_cmp_ne_u32_e32 vcc, 0, v1
	v_lshrrev_b32_e32 v6, 8, v7
	v_bfe_u32 v8, v7, 20, 11
	v_cndmask_b32_e64 v1, 0, 1, vcc
	v_and_or_b32 v1, v6, s7, v1
	v_sub_u32_e32 v9, 0x3f1, v8
	v_or_b32_e32 v6, 0x1000, v1
	v_med3_i32 v9, v9, 0, 13
	v_lshrrev_b32_e32 v10, v9, v6
	v_lshlrev_b32_e32 v9, v9, v10
	v_cmp_ne_u32_e32 vcc, v9, v6
	v_add_u32_e32 v8, 0xfffffc10, v8
	v_lshl_or_b32 v9, v8, 12, v1
	v_cndmask_b32_e64 v6, 0, 1, vcc
	v_or_b32_e32 v6, v10, v6
	v_cmp_gt_i32_e32 vcc, 1, v8
	v_mul_f16_sdwa v5, v42, v5 dst_sel:DWORD dst_unused:UNUSED_PAD src0_sel:WORD_1 src1_sel:DWORD
	v_fma_f16 v4, v42, v4, -v5
	v_cndmask_b32_e32 v6, v9, v6, vcc
	v_and_b32_e32 v9, 7, v6
	v_cmp_lt_i32_e32 vcc, 5, v9
	v_cmp_eq_u32_e64 s[0:1], 3, v9
	v_cvt_f32_f16_e32 v4, v4
	v_lshrrev_b32_e32 v6, 2, v6
	s_or_b64 vcc, s[0:1], vcc
	v_addc_co_u32_e32 v6, vcc, 0, v6, vcc
	v_cmp_gt_i32_e32 vcc, 31, v8
	v_cvt_f64_f32_e32 v[4:5], v4
	v_mul_f64 v[4:5], v[4:5], s[2:3]
	v_cndmask_b32_e32 v6, v0, v6, vcc
	v_cmp_ne_u32_e32 vcc, 0, v1
	v_and_or_b32 v4, v5, s6, v4
	s_mulk_i32 s5, 0x78
	v_cndmask_b32_e64 v1, 0, 1, vcc
	v_lshl_or_b32 v1, v1, 9, v0
	v_cmp_eq_u32_e32 vcc, s8, v8
	v_bfe_u32 v8, v5, 20, 11
	v_sub_u32_e32 v9, 0x3f1, v8
	v_cndmask_b32_e32 v1, v6, v1, vcc
	v_cmp_ne_u32_e32 vcc, 0, v4
	v_and_b32_sdwa v6, v7, s9 dst_sel:DWORD dst_unused:UNUSED_PAD src0_sel:WORD_1 src1_sel:DWORD
	v_lshrrev_b32_e32 v7, 8, v5
	v_cndmask_b32_e64 v4, 0, 1, vcc
	v_and_or_b32 v4, v7, s7, v4
	v_or_b32_e32 v7, 0x1000, v4
	v_med3_i32 v9, v9, 0, 13
	v_lshrrev_b32_e32 v10, v9, v7
	v_lshlrev_b32_e32 v9, v9, v10
	v_cmp_ne_u32_e32 vcc, v9, v7
	v_add_u32_e32 v8, 0xfffffc10, v8
	v_lshl_or_b32 v9, v8, 12, v4
	v_cndmask_b32_e64 v7, 0, 1, vcc
	v_or_b32_e32 v7, v10, v7
	v_cmp_gt_i32_e32 vcc, 1, v8
	v_lshrrev_b32_e32 v5, 16, v5
	v_bitop3_b32 v1, v6, s10, v1 bitop3:0xc8
	v_cndmask_b32_e32 v7, v9, v7, vcc
	v_and_b32_e32 v9, 7, v7
	v_cmp_lt_i32_e32 vcc, 5, v9
	v_cmp_eq_u32_e64 s[0:1], 3, v9
	v_lshrrev_b32_e32 v7, 2, v7
	s_or_b64 vcc, s[0:1], vcc
	v_addc_co_u32_e32 v7, vcc, 0, v7, vcc
	v_cmp_gt_i32_e32 vcc, 31, v8
	s_nop 1
	v_cndmask_b32_e32 v7, v0, v7, vcc
	v_cmp_ne_u32_e32 vcc, 0, v4
	s_nop 1
	v_cndmask_b32_e64 v4, 0, 1, vcc
	v_lshl_or_b32 v4, v4, 9, v0
	v_cmp_eq_u32_e32 vcc, s8, v8
	s_nop 1
	v_cndmask_b32_e32 v4, v7, v4, vcc
	v_and_or_b32 v7, v5, s9, v4
	ds_read2_b32 v[4:5], v35 offset0:60 offset1:90
	v_lshl_or_b32 v6, v7, 16, v1
	v_mov_b32_e32 v1, 0x78
	v_mad_u64_u32 v[2:3], s[0:1], s4, v1, v[2:3]
	s_waitcnt lgkmcnt(0)
	v_lshrrev_b32_e32 v8, 16, v4
	v_mul_f16_sdwa v7, v41, v8 dst_sel:DWORD dst_unused:UNUSED_PAD src0_sel:WORD_1 src1_sel:DWORD
	v_fma_f16 v7, v41, v4, v7
	v_cvt_f32_f16_e32 v7, v7
	v_add_u32_e32 v3, s5, v3
	global_store_dword v[2:3], v6, off
	v_mul_f16_sdwa v4, v41, v4 dst_sel:DWORD dst_unused:UNUSED_PAD src0_sel:WORD_1 src1_sel:DWORD
	v_cvt_f64_f32_e32 v[6:7], v7
	v_mul_f64 v[6:7], v[6:7], s[2:3]
	v_and_or_b32 v6, v7, s6, v6
	v_cmp_ne_u32_e32 vcc, 0, v6
	v_lshrrev_b32_e32 v9, 8, v7
	v_bfe_u32 v10, v7, 20, 11
	v_cndmask_b32_e64 v6, 0, 1, vcc
	v_and_or_b32 v6, v9, s7, v6
	v_sub_u32_e32 v12, 0x3f1, v10
	v_or_b32_e32 v9, 0x1000, v6
	v_med3_i32 v12, v12, 0, 13
	v_lshrrev_b32_e32 v13, v12, v9
	v_lshlrev_b32_e32 v12, v12, v13
	v_cmp_ne_u32_e32 vcc, v12, v9
	v_add_u32_e32 v10, 0xfffffc10, v10
	v_lshl_or_b32 v12, v10, 12, v6
	v_cndmask_b32_e64 v9, 0, 1, vcc
	v_or_b32_e32 v9, v13, v9
	v_cmp_gt_i32_e32 vcc, 1, v10
	v_fma_f16 v4, v41, v8, -v4
	v_cvt_f32_f16_e32 v4, v4
	v_cndmask_b32_e32 v9, v12, v9, vcc
	v_and_b32_e32 v12, 7, v9
	v_cmp_lt_i32_e32 vcc, 5, v12
	v_cmp_eq_u32_e64 s[0:1], 3, v12
	v_lshrrev_b32_e32 v9, 2, v9
	s_or_b64 vcc, s[0:1], vcc
	v_addc_co_u32_e32 v9, vcc, 0, v9, vcc
	v_cmp_gt_i32_e32 vcc, 31, v10
	s_nop 1
	v_cndmask_b32_e32 v9, v0, v9, vcc
	v_cmp_ne_u32_e32 vcc, 0, v6
	s_nop 1
	v_cndmask_b32_e64 v6, 0, 1, vcc
	v_lshl_or_b32 v6, v6, 9, v0
	v_cmp_eq_u32_e32 vcc, s8, v10
	s_nop 1
	v_cndmask_b32_e32 v8, v9, v6, vcc
	v_and_b32_sdwa v9, v7, s9 dst_sel:DWORD dst_unused:UNUSED_PAD src0_sel:WORD_1 src1_sel:DWORD
	v_cvt_f64_f32_e32 v[6:7], v4
	v_mul_f64 v[6:7], v[6:7], s[2:3]
	v_and_or_b32 v4, v7, s6, v6
	v_cmp_ne_u32_e32 vcc, 0, v4
	v_lshrrev_b32_e32 v6, 8, v7
	v_bfe_u32 v10, v7, 20, 11
	v_cndmask_b32_e64 v4, 0, 1, vcc
	v_and_or_b32 v4, v6, s7, v4
	v_sub_u32_e32 v12, 0x3f1, v10
	v_or_b32_e32 v6, 0x1000, v4
	v_med3_i32 v12, v12, 0, 13
	v_lshrrev_b32_e32 v13, v12, v6
	v_lshlrev_b32_e32 v12, v12, v13
	v_cmp_ne_u32_e32 vcc, v12, v6
	v_add_u32_e32 v10, 0xfffffc10, v10
	v_lshl_or_b32 v12, v10, 12, v4
	v_cndmask_b32_e64 v6, 0, 1, vcc
	v_or_b32_e32 v6, v13, v6
	v_cmp_gt_i32_e32 vcc, 1, v10
	s_nop 1
	v_cndmask_b32_e32 v6, v12, v6, vcc
	v_and_b32_e32 v12, 7, v6
	v_cmp_lt_i32_e32 vcc, 5, v12
	v_cmp_eq_u32_e64 s[0:1], 3, v12
	v_lshrrev_b32_e32 v6, 2, v6
	s_or_b64 vcc, s[0:1], vcc
	v_addc_co_u32_e32 v6, vcc, 0, v6, vcc
	v_cmp_gt_i32_e32 vcc, 31, v10
	v_mad_u64_u32 v[2:3], s[0:1], s4, v1, v[2:3]
	s_nop 0
	v_cndmask_b32_e32 v6, v0, v6, vcc
	v_cmp_ne_u32_e32 vcc, 0, v4
	v_add_u32_e32 v3, s5, v3
	s_nop 0
	v_cndmask_b32_e64 v4, 0, 1, vcc
	v_lshl_or_b32 v4, v4, 9, v0
	v_cmp_eq_u32_e32 vcc, s8, v10
	s_nop 1
	v_cndmask_b32_e32 v4, v6, v4, vcc
	v_lshrrev_b32_e32 v6, 16, v7
	v_and_or_b32 v4, v6, s9, v4
	v_bitop3_b32 v6, v9, s10, v8 bitop3:0xc8
	v_lshrrev_b32_e32 v8, 16, v5
	v_lshl_or_b32 v4, v4, 16, v6
	v_mul_f16_sdwa v6, v40, v8 dst_sel:DWORD dst_unused:UNUSED_PAD src0_sel:WORD_1 src1_sel:DWORD
	v_fma_f16 v6, v40, v5, v6
	v_cvt_f32_f16_e32 v6, v6
	global_store_dword v[2:3], v4, off
	v_mul_f16_sdwa v5, v40, v5 dst_sel:DWORD dst_unused:UNUSED_PAD src0_sel:WORD_1 src1_sel:DWORD
	v_fma_f16 v5, v40, v8, -v5
	v_cvt_f64_f32_e32 v[6:7], v6
	v_mul_f64 v[6:7], v[6:7], s[2:3]
	v_and_or_b32 v4, v7, s6, v6
	v_cmp_ne_u32_e32 vcc, 0, v4
	v_lshrrev_b32_e32 v6, 8, v7
	v_bfe_u32 v9, v7, 20, 11
	v_cndmask_b32_e64 v4, 0, 1, vcc
	v_and_or_b32 v4, v6, s7, v4
	v_sub_u32_e32 v10, 0x3f1, v9
	v_or_b32_e32 v6, 0x1000, v4
	v_med3_i32 v10, v10, 0, 13
	v_lshrrev_b32_e32 v12, v10, v6
	v_lshlrev_b32_e32 v10, v10, v12
	v_cmp_ne_u32_e32 vcc, v10, v6
	v_add_u32_e32 v9, 0xfffffc10, v9
	v_lshl_or_b32 v10, v9, 12, v4
	v_cndmask_b32_e64 v6, 0, 1, vcc
	v_or_b32_e32 v6, v12, v6
	v_cmp_gt_i32_e32 vcc, 1, v9
	v_cvt_f32_f16_e32 v5, v5
	s_nop 0
	v_cndmask_b32_e32 v6, v10, v6, vcc
	v_and_b32_e32 v10, 7, v6
	v_cmp_lt_i32_e32 vcc, 5, v10
	v_cmp_eq_u32_e64 s[0:1], 3, v10
	v_lshrrev_b32_e32 v6, 2, v6
	s_or_b64 vcc, s[0:1], vcc
	v_addc_co_u32_e32 v6, vcc, 0, v6, vcc
	v_cmp_gt_i32_e32 vcc, 31, v9
	s_nop 1
	v_cndmask_b32_e32 v6, v0, v6, vcc
	v_cmp_ne_u32_e32 vcc, 0, v4
	s_nop 1
	v_cndmask_b32_e64 v4, 0, 1, vcc
	v_lshl_or_b32 v4, v4, 9, v0
	v_cmp_eq_u32_e32 vcc, s8, v9
	v_and_b32_sdwa v9, v7, s9 dst_sel:DWORD dst_unused:UNUSED_PAD src0_sel:WORD_1 src1_sel:DWORD
	s_nop 0
	v_cndmask_b32_e32 v8, v6, v4, vcc
	v_cvt_f64_f32_e32 v[4:5], v5
	v_mul_f64 v[4:5], v[4:5], s[2:3]
	v_and_or_b32 v4, v5, s6, v4
	v_cmp_ne_u32_e32 vcc, 0, v4
	v_lshrrev_b32_e32 v6, 8, v5
	v_bfe_u32 v7, v5, 20, 11
	v_cndmask_b32_e64 v4, 0, 1, vcc
	v_and_or_b32 v4, v6, s7, v4
	v_sub_u32_e32 v10, 0x3f1, v7
	v_or_b32_e32 v6, 0x1000, v4
	v_med3_i32 v10, v10, 0, 13
	v_lshrrev_b32_e32 v12, v10, v6
	v_lshlrev_b32_e32 v10, v10, v12
	v_cmp_ne_u32_e32 vcc, v10, v6
	v_add_u32_e32 v7, 0xfffffc10, v7
	v_lshl_or_b32 v10, v7, 12, v4
	v_cndmask_b32_e64 v6, 0, 1, vcc
	v_or_b32_e32 v6, v12, v6
	v_cmp_gt_i32_e32 vcc, 1, v7
	v_lshrrev_b32_e32 v5, 16, v5
	s_nop 0
	v_cndmask_b32_e32 v6, v10, v6, vcc
	v_and_b32_e32 v10, 7, v6
	v_cmp_lt_i32_e32 vcc, 5, v10
	v_cmp_eq_u32_e64 s[0:1], 3, v10
	v_lshrrev_b32_e32 v6, 2, v6
	s_or_b64 vcc, s[0:1], vcc
	v_addc_co_u32_e32 v6, vcc, 0, v6, vcc
	v_cmp_gt_i32_e32 vcc, 31, v7
	v_mad_u64_u32 v[2:3], s[0:1], s4, v1, v[2:3]
	s_nop 0
	v_cndmask_b32_e32 v6, v0, v6, vcc
	v_cmp_ne_u32_e32 vcc, 0, v4
	v_add_u32_e32 v3, s5, v3
	s_nop 0
	v_cndmask_b32_e64 v4, 0, 1, vcc
	v_lshl_or_b32 v4, v4, 9, v0
	v_cmp_eq_u32_e32 vcc, s8, v7
	s_nop 1
	v_cndmask_b32_e32 v4, v6, v4, vcc
	ds_read2_b32 v[6:7], v35 offset0:120 offset1:150
	v_and_or_b32 v4, v5, s9, v4
	v_bitop3_b32 v5, v9, s10, v8 bitop3:0xc8
	v_lshl_or_b32 v4, v4, 16, v5
	global_store_dword v[2:3], v4, off
	s_waitcnt lgkmcnt(0)
	v_lshrrev_b32_e32 v8, 16, v6
	v_mul_f16_sdwa v5, v39, v8 dst_sel:DWORD dst_unused:UNUSED_PAD src0_sel:WORD_1 src1_sel:DWORD
	v_fma_f16 v5, v39, v6, v5
	v_cvt_f32_f16_e32 v5, v5
	v_mul_f16_sdwa v6, v39, v6 dst_sel:DWORD dst_unused:UNUSED_PAD src0_sel:WORD_1 src1_sel:DWORD
	v_fma_f16 v6, v39, v8, -v6
	v_cvt_f32_f16_e32 v6, v6
	v_cvt_f64_f32_e32 v[4:5], v5
	v_mul_f64 v[4:5], v[4:5], s[2:3]
	v_and_or_b32 v4, v5, s6, v4
	v_cmp_ne_u32_e32 vcc, 0, v4
	v_lshrrev_b32_e32 v9, 8, v5
	v_bfe_u32 v10, v5, 20, 11
	v_cndmask_b32_e64 v4, 0, 1, vcc
	v_and_or_b32 v4, v9, s7, v4
	v_sub_u32_e32 v12, 0x3f1, v10
	v_or_b32_e32 v9, 0x1000, v4
	v_med3_i32 v12, v12, 0, 13
	v_lshrrev_b32_e32 v13, v12, v9
	v_lshlrev_b32_e32 v12, v12, v13
	v_cmp_ne_u32_e32 vcc, v12, v9
	v_add_u32_e32 v10, 0xfffffc10, v10
	v_lshl_or_b32 v12, v10, 12, v4
	v_cndmask_b32_e64 v9, 0, 1, vcc
	v_or_b32_e32 v9, v13, v9
	v_cmp_gt_i32_e32 vcc, 1, v10
	s_nop 1
	v_cndmask_b32_e32 v9, v12, v9, vcc
	v_and_b32_e32 v12, 7, v9
	v_cmp_lt_i32_e32 vcc, 5, v12
	v_cmp_eq_u32_e64 s[0:1], 3, v12
	v_lshrrev_b32_e32 v9, 2, v9
	s_or_b64 vcc, s[0:1], vcc
	v_addc_co_u32_e32 v9, vcc, 0, v9, vcc
	v_cmp_gt_i32_e32 vcc, 31, v10
	s_nop 1
	v_cndmask_b32_e32 v9, v0, v9, vcc
	v_cmp_ne_u32_e32 vcc, 0, v4
	s_nop 1
	v_cndmask_b32_e64 v4, 0, 1, vcc
	v_lshl_or_b32 v4, v4, 9, v0
	v_cmp_eq_u32_e32 vcc, s8, v10
	s_nop 1
	v_cndmask_b32_e32 v8, v9, v4, vcc
	v_and_b32_sdwa v9, v5, s9 dst_sel:DWORD dst_unused:UNUSED_PAD src0_sel:WORD_1 src1_sel:DWORD
	v_cvt_f64_f32_e32 v[4:5], v6
	v_mul_f64 v[4:5], v[4:5], s[2:3]
	v_and_or_b32 v4, v5, s6, v4
	v_cmp_ne_u32_e32 vcc, 0, v4
	v_lshrrev_b32_e32 v6, 8, v5
	v_bfe_u32 v10, v5, 20, 11
	v_cndmask_b32_e64 v4, 0, 1, vcc
	v_and_or_b32 v4, v6, s7, v4
	v_sub_u32_e32 v12, 0x3f1, v10
	v_or_b32_e32 v6, 0x1000, v4
	v_med3_i32 v12, v12, 0, 13
	v_lshrrev_b32_e32 v13, v12, v6
	v_lshlrev_b32_e32 v12, v12, v13
	v_cmp_ne_u32_e32 vcc, v12, v6
	v_add_u32_e32 v10, 0xfffffc10, v10
	v_lshl_or_b32 v12, v10, 12, v4
	v_cndmask_b32_e64 v6, 0, 1, vcc
	v_or_b32_e32 v6, v13, v6
	v_cmp_gt_i32_e32 vcc, 1, v10
	v_lshrrev_b32_e32 v5, 16, v5
	s_nop 0
	v_cndmask_b32_e32 v6, v12, v6, vcc
	v_and_b32_e32 v12, 7, v6
	v_cmp_lt_i32_e32 vcc, 5, v12
	v_cmp_eq_u32_e64 s[0:1], 3, v12
	v_lshrrev_b32_e32 v6, 2, v6
	s_or_b64 vcc, s[0:1], vcc
	v_addc_co_u32_e32 v6, vcc, 0, v6, vcc
	v_cmp_gt_i32_e32 vcc, 31, v10
	v_mad_u64_u32 v[2:3], s[0:1], s4, v1, v[2:3]
	s_nop 0
	v_cndmask_b32_e32 v6, v0, v6, vcc
	v_cmp_ne_u32_e32 vcc, 0, v4
	v_add_u32_e32 v3, s5, v3
	s_nop 0
	v_cndmask_b32_e64 v4, 0, 1, vcc
	v_lshl_or_b32 v4, v4, 9, v0
	v_cmp_eq_u32_e32 vcc, s8, v10
	s_nop 1
	v_cndmask_b32_e32 v4, v6, v4, vcc
	v_and_or_b32 v4, v5, s9, v4
	v_bitop3_b32 v5, v9, s10, v8 bitop3:0xc8
	v_lshrrev_b32_e32 v6, 16, v7
	v_lshl_or_b32 v4, v4, 16, v5
	v_mul_f16_sdwa v5, v38, v6 dst_sel:DWORD dst_unused:UNUSED_PAD src0_sel:WORD_1 src1_sel:DWORD
	v_fma_f16 v5, v38, v7, v5
	v_cvt_f32_f16_e32 v5, v5
	global_store_dword v[2:3], v4, off
	v_mul_f16_sdwa v7, v38, v7 dst_sel:DWORD dst_unused:UNUSED_PAD src0_sel:WORD_1 src1_sel:DWORD
	v_fma_f16 v6, v38, v6, -v7
	v_cvt_f64_f32_e32 v[4:5], v5
	v_mul_f64 v[4:5], v[4:5], s[2:3]
	v_and_or_b32 v4, v5, s6, v4
	v_cmp_ne_u32_e32 vcc, 0, v4
	v_lshrrev_b32_e32 v8, 8, v5
	v_bfe_u32 v9, v5, 20, 11
	v_cndmask_b32_e64 v4, 0, 1, vcc
	v_and_or_b32 v4, v8, s7, v4
	v_sub_u32_e32 v10, 0x3f1, v9
	v_or_b32_e32 v8, 0x1000, v4
	v_med3_i32 v10, v10, 0, 13
	v_lshrrev_b32_e32 v12, v10, v8
	v_lshlrev_b32_e32 v10, v10, v12
	v_cmp_ne_u32_e32 vcc, v10, v8
	v_add_u32_e32 v9, 0xfffffc10, v9
	v_lshl_or_b32 v10, v9, 12, v4
	v_cndmask_b32_e64 v8, 0, 1, vcc
	v_or_b32_e32 v8, v12, v8
	v_cmp_gt_i32_e32 vcc, 1, v9
	v_cvt_f32_f16_e32 v6, v6
	s_nop 0
	v_cndmask_b32_e32 v8, v10, v8, vcc
	v_and_b32_e32 v10, 7, v8
	v_cmp_lt_i32_e32 vcc, 5, v10
	v_cmp_eq_u32_e64 s[0:1], 3, v10
	v_lshrrev_b32_e32 v8, 2, v8
	s_or_b64 vcc, s[0:1], vcc
	v_addc_co_u32_e32 v8, vcc, 0, v8, vcc
	v_cmp_gt_i32_e32 vcc, 31, v9
	s_nop 1
	v_cndmask_b32_e32 v8, v0, v8, vcc
	v_cmp_ne_u32_e32 vcc, 0, v4
	s_nop 1
	v_cndmask_b32_e64 v4, 0, 1, vcc
	v_lshl_or_b32 v4, v4, 9, v0
	v_cmp_eq_u32_e32 vcc, s8, v9
	v_and_b32_sdwa v9, v5, s9 dst_sel:DWORD dst_unused:UNUSED_PAD src0_sel:WORD_1 src1_sel:DWORD
	s_nop 0
	v_cndmask_b32_e32 v8, v8, v4, vcc
	v_cvt_f64_f32_e32 v[4:5], v6
	v_mul_f64 v[4:5], v[4:5], s[2:3]
	v_and_or_b32 v4, v5, s6, v4
	v_cmp_ne_u32_e32 vcc, 0, v4
	v_lshrrev_b32_e32 v6, 8, v5
	v_bfe_u32 v7, v5, 20, 11
	v_cndmask_b32_e64 v4, 0, 1, vcc
	v_and_or_b32 v4, v6, s7, v4
	v_sub_u32_e32 v10, 0x3f1, v7
	v_or_b32_e32 v6, 0x1000, v4
	v_med3_i32 v10, v10, 0, 13
	v_lshrrev_b32_e32 v12, v10, v6
	v_lshlrev_b32_e32 v10, v10, v12
	v_cmp_ne_u32_e32 vcc, v10, v6
	v_add_u32_e32 v7, 0xfffffc10, v7
	v_lshl_or_b32 v10, v7, 12, v4
	v_cndmask_b32_e64 v6, 0, 1, vcc
	v_or_b32_e32 v6, v12, v6
	v_cmp_gt_i32_e32 vcc, 1, v7
	v_lshrrev_b32_e32 v5, 16, v5
	s_nop 0
	v_cndmask_b32_e32 v6, v10, v6, vcc
	v_and_b32_e32 v10, 7, v6
	v_cmp_lt_i32_e32 vcc, 5, v10
	v_cmp_eq_u32_e64 s[0:1], 3, v10
	v_lshrrev_b32_e32 v6, 2, v6
	s_or_b64 vcc, s[0:1], vcc
	v_addc_co_u32_e32 v6, vcc, 0, v6, vcc
	v_cmp_gt_i32_e32 vcc, 31, v7
	v_mad_u64_u32 v[2:3], s[0:1], s4, v1, v[2:3]
	s_nop 0
	v_cndmask_b32_e32 v6, v0, v6, vcc
	v_cmp_ne_u32_e32 vcc, 0, v4
	v_add_u32_e32 v3, s5, v3
	s_nop 0
	v_cndmask_b32_e64 v4, 0, 1, vcc
	v_lshl_or_b32 v4, v4, 9, v0
	v_cmp_eq_u32_e32 vcc, s8, v7
	s_nop 1
	v_cndmask_b32_e32 v4, v6, v4, vcc
	ds_read2_b32 v[6:7], v35 offset0:180 offset1:210
	v_and_or_b32 v4, v5, s9, v4
	v_bitop3_b32 v5, v9, s10, v8 bitop3:0xc8
	v_lshl_or_b32 v4, v4, 16, v5
	global_store_dword v[2:3], v4, off
	s_waitcnt lgkmcnt(0)
	v_lshrrev_b32_e32 v8, 16, v6
	v_mul_f16_sdwa v5, v37, v8 dst_sel:DWORD dst_unused:UNUSED_PAD src0_sel:WORD_1 src1_sel:DWORD
	v_fma_f16 v5, v37, v6, v5
	v_cvt_f32_f16_e32 v5, v5
	v_mul_f16_sdwa v6, v37, v6 dst_sel:DWORD dst_unused:UNUSED_PAD src0_sel:WORD_1 src1_sel:DWORD
	v_fma_f16 v6, v37, v8, -v6
	v_cvt_f32_f16_e32 v6, v6
	v_cvt_f64_f32_e32 v[4:5], v5
	v_mul_f64 v[4:5], v[4:5], s[2:3]
	v_and_or_b32 v4, v5, s6, v4
	v_cmp_ne_u32_e32 vcc, 0, v4
	v_lshrrev_b32_e32 v9, 8, v5
	v_bfe_u32 v10, v5, 20, 11
	v_cndmask_b32_e64 v4, 0, 1, vcc
	v_and_or_b32 v4, v9, s7, v4
	v_sub_u32_e32 v12, 0x3f1, v10
	v_or_b32_e32 v9, 0x1000, v4
	v_med3_i32 v12, v12, 0, 13
	v_lshrrev_b32_e32 v13, v12, v9
	v_lshlrev_b32_e32 v12, v12, v13
	v_cmp_ne_u32_e32 vcc, v12, v9
	v_add_u32_e32 v10, 0xfffffc10, v10
	v_lshl_or_b32 v12, v10, 12, v4
	v_cndmask_b32_e64 v9, 0, 1, vcc
	v_or_b32_e32 v9, v13, v9
	v_cmp_gt_i32_e32 vcc, 1, v10
	s_nop 1
	v_cndmask_b32_e32 v9, v12, v9, vcc
	v_and_b32_e32 v12, 7, v9
	v_cmp_lt_i32_e32 vcc, 5, v12
	v_cmp_eq_u32_e64 s[0:1], 3, v12
	v_lshrrev_b32_e32 v9, 2, v9
	s_or_b64 vcc, s[0:1], vcc
	v_addc_co_u32_e32 v9, vcc, 0, v9, vcc
	v_cmp_gt_i32_e32 vcc, 31, v10
	s_nop 1
	v_cndmask_b32_e32 v9, v0, v9, vcc
	v_cmp_ne_u32_e32 vcc, 0, v4
	s_nop 1
	v_cndmask_b32_e64 v4, 0, 1, vcc
	v_lshl_or_b32 v4, v4, 9, v0
	v_cmp_eq_u32_e32 vcc, s8, v10
	s_nop 1
	v_cndmask_b32_e32 v8, v9, v4, vcc
	v_and_b32_sdwa v9, v5, s9 dst_sel:DWORD dst_unused:UNUSED_PAD src0_sel:WORD_1 src1_sel:DWORD
	v_cvt_f64_f32_e32 v[4:5], v6
	v_mul_f64 v[4:5], v[4:5], s[2:3]
	v_and_or_b32 v4, v5, s6, v4
	v_cmp_ne_u32_e32 vcc, 0, v4
	v_lshrrev_b32_e32 v6, 8, v5
	v_bfe_u32 v10, v5, 20, 11
	v_cndmask_b32_e64 v4, 0, 1, vcc
	v_and_or_b32 v4, v6, s7, v4
	v_sub_u32_e32 v12, 0x3f1, v10
	v_or_b32_e32 v6, 0x1000, v4
	v_med3_i32 v12, v12, 0, 13
	v_lshrrev_b32_e32 v13, v12, v6
	v_lshlrev_b32_e32 v12, v12, v13
	v_cmp_ne_u32_e32 vcc, v12, v6
	v_add_u32_e32 v10, 0xfffffc10, v10
	v_lshl_or_b32 v12, v10, 12, v4
	v_cndmask_b32_e64 v6, 0, 1, vcc
	v_or_b32_e32 v6, v13, v6
	v_cmp_gt_i32_e32 vcc, 1, v10
	v_lshrrev_b32_e32 v5, 16, v5
	s_nop 0
	v_cndmask_b32_e32 v6, v12, v6, vcc
	v_and_b32_e32 v12, 7, v6
	v_cmp_lt_i32_e32 vcc, 5, v12
	v_cmp_eq_u32_e64 s[0:1], 3, v12
	v_lshrrev_b32_e32 v6, 2, v6
	s_or_b64 vcc, s[0:1], vcc
	v_addc_co_u32_e32 v6, vcc, 0, v6, vcc
	v_cmp_gt_i32_e32 vcc, 31, v10
	v_mad_u64_u32 v[2:3], s[0:1], s4, v1, v[2:3]
	s_nop 0
	v_cndmask_b32_e32 v6, v0, v6, vcc
	v_cmp_ne_u32_e32 vcc, 0, v4
	v_add_u32_e32 v3, s5, v3
	s_nop 0
	v_cndmask_b32_e64 v4, 0, 1, vcc
	v_lshl_or_b32 v4, v4, 9, v0
	v_cmp_eq_u32_e32 vcc, s8, v10
	s_nop 1
	v_cndmask_b32_e32 v4, v6, v4, vcc
	v_and_or_b32 v4, v5, s9, v4
	v_bitop3_b32 v5, v9, s10, v8 bitop3:0xc8
	v_lshrrev_b32_e32 v6, 16, v7
	v_lshl_or_b32 v4, v4, 16, v5
	v_mul_f16_sdwa v5, v36, v6 dst_sel:DWORD dst_unused:UNUSED_PAD src0_sel:WORD_1 src1_sel:DWORD
	v_fma_f16 v5, v36, v7, v5
	v_cvt_f32_f16_e32 v5, v5
	global_store_dword v[2:3], v4, off
	v_mul_f16_sdwa v7, v36, v7 dst_sel:DWORD dst_unused:UNUSED_PAD src0_sel:WORD_1 src1_sel:DWORD
	v_fma_f16 v6, v36, v6, -v7
	v_cvt_f64_f32_e32 v[4:5], v5
	v_mul_f64 v[4:5], v[4:5], s[2:3]
	v_and_or_b32 v4, v5, s6, v4
	v_cmp_ne_u32_e32 vcc, 0, v4
	v_lshrrev_b32_e32 v8, 8, v5
	v_bfe_u32 v9, v5, 20, 11
	v_cndmask_b32_e64 v4, 0, 1, vcc
	v_and_or_b32 v4, v8, s7, v4
	v_sub_u32_e32 v10, 0x3f1, v9
	v_or_b32_e32 v8, 0x1000, v4
	v_med3_i32 v10, v10, 0, 13
	v_lshrrev_b32_e32 v12, v10, v8
	v_lshlrev_b32_e32 v10, v10, v12
	v_cmp_ne_u32_e32 vcc, v10, v8
	v_add_u32_e32 v9, 0xfffffc10, v9
	v_lshl_or_b32 v10, v9, 12, v4
	v_cndmask_b32_e64 v8, 0, 1, vcc
	v_or_b32_e32 v8, v12, v8
	v_cmp_gt_i32_e32 vcc, 1, v9
	v_cvt_f32_f16_e32 v6, v6
	s_nop 0
	v_cndmask_b32_e32 v8, v10, v8, vcc
	v_and_b32_e32 v10, 7, v8
	v_cmp_lt_i32_e32 vcc, 5, v10
	v_cmp_eq_u32_e64 s[0:1], 3, v10
	v_lshrrev_b32_e32 v8, 2, v8
	s_or_b64 vcc, s[0:1], vcc
	v_addc_co_u32_e32 v8, vcc, 0, v8, vcc
	v_cmp_gt_i32_e32 vcc, 31, v9
	s_nop 1
	v_cndmask_b32_e32 v8, v0, v8, vcc
	v_cmp_ne_u32_e32 vcc, 0, v4
	s_nop 1
	v_cndmask_b32_e64 v4, 0, 1, vcc
	v_lshl_or_b32 v4, v4, 9, v0
	v_cmp_eq_u32_e32 vcc, s8, v9
	v_and_b32_sdwa v9, v5, s9 dst_sel:DWORD dst_unused:UNUSED_PAD src0_sel:WORD_1 src1_sel:DWORD
	s_nop 0
	v_cndmask_b32_e32 v8, v8, v4, vcc
	v_cvt_f64_f32_e32 v[4:5], v6
	v_mul_f64 v[4:5], v[4:5], s[2:3]
	v_and_or_b32 v4, v5, s6, v4
	v_cmp_ne_u32_e32 vcc, 0, v4
	v_lshrrev_b32_e32 v6, 8, v5
	v_bfe_u32 v7, v5, 20, 11
	v_cndmask_b32_e64 v4, 0, 1, vcc
	v_and_or_b32 v4, v6, s7, v4
	v_sub_u32_e32 v10, 0x3f1, v7
	v_or_b32_e32 v6, 0x1000, v4
	v_med3_i32 v10, v10, 0, 13
	v_lshrrev_b32_e32 v12, v10, v6
	v_lshlrev_b32_e32 v10, v10, v12
	v_cmp_ne_u32_e32 vcc, v10, v6
	v_add_u32_e32 v7, 0xfffffc10, v7
	v_lshl_or_b32 v10, v7, 12, v4
	v_cndmask_b32_e64 v6, 0, 1, vcc
	v_or_b32_e32 v6, v12, v6
	v_cmp_gt_i32_e32 vcc, 1, v7
	v_lshrrev_b32_e32 v5, 16, v5
	s_nop 0
	v_cndmask_b32_e32 v6, v10, v6, vcc
	v_and_b32_e32 v10, 7, v6
	v_cmp_lt_i32_e32 vcc, 5, v10
	v_cmp_eq_u32_e64 s[0:1], 3, v10
	v_lshrrev_b32_e32 v6, 2, v6
	s_or_b64 vcc, s[0:1], vcc
	v_addc_co_u32_e32 v6, vcc, 0, v6, vcc
	v_cmp_gt_i32_e32 vcc, 31, v7
	v_mad_u64_u32 v[2:3], s[0:1], s4, v1, v[2:3]
	s_nop 0
	v_cndmask_b32_e32 v6, v0, v6, vcc
	v_cmp_ne_u32_e32 vcc, 0, v4
	v_add_u32_e32 v3, s5, v3
	s_nop 0
	v_cndmask_b32_e64 v4, 0, 1, vcc
	v_lshl_or_b32 v4, v4, 9, v0
	v_cmp_eq_u32_e32 vcc, s8, v7
	s_nop 1
	v_cndmask_b32_e32 v4, v6, v4, vcc
	v_add_u32_e32 v6, 0x200, v35
	ds_read2_b32 v[6:7], v6 offset0:112 offset1:142
	v_and_or_b32 v4, v5, s9, v4
	v_bitop3_b32 v5, v9, s10, v8 bitop3:0xc8
	v_lshl_or_b32 v4, v4, 16, v5
	global_store_dword v[2:3], v4, off
	s_waitcnt lgkmcnt(0)
	v_lshrrev_b32_e32 v8, 16, v6
	v_mul_f16_sdwa v5, v34, v8 dst_sel:DWORD dst_unused:UNUSED_PAD src0_sel:WORD_1 src1_sel:DWORD
	v_fma_f16 v5, v34, v6, v5
	v_cvt_f32_f16_e32 v5, v5
	v_mul_f16_sdwa v6, v34, v6 dst_sel:DWORD dst_unused:UNUSED_PAD src0_sel:WORD_1 src1_sel:DWORD
	v_fma_f16 v6, v34, v8, -v6
	v_cvt_f32_f16_e32 v6, v6
	v_cvt_f64_f32_e32 v[4:5], v5
	v_mul_f64 v[4:5], v[4:5], s[2:3]
	v_and_or_b32 v4, v5, s6, v4
	v_cmp_ne_u32_e32 vcc, 0, v4
	v_lshrrev_b32_e32 v9, 8, v5
	v_bfe_u32 v10, v5, 20, 11
	v_cndmask_b32_e64 v4, 0, 1, vcc
	v_and_or_b32 v4, v9, s7, v4
	v_sub_u32_e32 v12, 0x3f1, v10
	v_or_b32_e32 v9, 0x1000, v4
	v_med3_i32 v12, v12, 0, 13
	v_lshrrev_b32_e32 v13, v12, v9
	v_lshlrev_b32_e32 v12, v12, v13
	v_cmp_ne_u32_e32 vcc, v12, v9
	v_add_u32_e32 v10, 0xfffffc10, v10
	v_lshl_or_b32 v12, v10, 12, v4
	v_cndmask_b32_e64 v9, 0, 1, vcc
	v_or_b32_e32 v9, v13, v9
	v_cmp_gt_i32_e32 vcc, 1, v10
	s_nop 1
	v_cndmask_b32_e32 v9, v12, v9, vcc
	v_and_b32_e32 v12, 7, v9
	v_cmp_lt_i32_e32 vcc, 5, v12
	v_cmp_eq_u32_e64 s[0:1], 3, v12
	v_lshrrev_b32_e32 v9, 2, v9
	s_or_b64 vcc, s[0:1], vcc
	v_addc_co_u32_e32 v9, vcc, 0, v9, vcc
	v_cmp_gt_i32_e32 vcc, 31, v10
	s_nop 1
	v_cndmask_b32_e32 v9, v0, v9, vcc
	v_cmp_ne_u32_e32 vcc, 0, v4
	s_nop 1
	v_cndmask_b32_e64 v4, 0, 1, vcc
	v_lshl_or_b32 v4, v4, 9, v0
	v_cmp_eq_u32_e32 vcc, s8, v10
	s_nop 1
	v_cndmask_b32_e32 v8, v9, v4, vcc
	v_and_b32_sdwa v9, v5, s9 dst_sel:DWORD dst_unused:UNUSED_PAD src0_sel:WORD_1 src1_sel:DWORD
	v_cvt_f64_f32_e32 v[4:5], v6
	v_mul_f64 v[4:5], v[4:5], s[2:3]
	v_and_or_b32 v4, v5, s6, v4
	v_cmp_ne_u32_e32 vcc, 0, v4
	v_lshrrev_b32_e32 v6, 8, v5
	v_bfe_u32 v10, v5, 20, 11
	v_cndmask_b32_e64 v4, 0, 1, vcc
	v_and_or_b32 v4, v6, s7, v4
	v_sub_u32_e32 v12, 0x3f1, v10
	v_or_b32_e32 v6, 0x1000, v4
	v_med3_i32 v12, v12, 0, 13
	v_lshrrev_b32_e32 v13, v12, v6
	v_lshlrev_b32_e32 v12, v12, v13
	v_cmp_ne_u32_e32 vcc, v12, v6
	v_add_u32_e32 v10, 0xfffffc10, v10
	v_lshl_or_b32 v12, v10, 12, v4
	v_cndmask_b32_e64 v6, 0, 1, vcc
	v_or_b32_e32 v6, v13, v6
	v_cmp_gt_i32_e32 vcc, 1, v10
	v_lshrrev_b32_e32 v5, 16, v5
	s_nop 0
	v_cndmask_b32_e32 v6, v12, v6, vcc
	v_and_b32_e32 v12, 7, v6
	v_cmp_lt_i32_e32 vcc, 5, v12
	v_cmp_eq_u32_e64 s[0:1], 3, v12
	v_lshrrev_b32_e32 v6, 2, v6
	s_or_b64 vcc, s[0:1], vcc
	v_addc_co_u32_e32 v6, vcc, 0, v6, vcc
	v_cmp_gt_i32_e32 vcc, 31, v10
	v_mad_u64_u32 v[2:3], s[0:1], s4, v1, v[2:3]
	s_nop 0
	v_cndmask_b32_e32 v6, v0, v6, vcc
	v_cmp_ne_u32_e32 vcc, 0, v4
	v_add_u32_e32 v3, s5, v3
	s_nop 0
	v_cndmask_b32_e64 v4, 0, 1, vcc
	v_lshl_or_b32 v4, v4, 9, v0
	v_cmp_eq_u32_e32 vcc, s8, v10
	s_nop 1
	v_cndmask_b32_e32 v4, v6, v4, vcc
	v_and_or_b32 v4, v5, s9, v4
	v_bitop3_b32 v5, v9, s10, v8 bitop3:0xc8
	v_lshrrev_b32_e32 v6, 16, v7
	v_lshl_or_b32 v4, v4, 16, v5
	v_mul_f16_sdwa v5, v11, v6 dst_sel:DWORD dst_unused:UNUSED_PAD src0_sel:WORD_1 src1_sel:DWORD
	v_fma_f16 v5, v11, v7, v5
	v_cvt_f32_f16_e32 v5, v5
	global_store_dword v[2:3], v4, off
	v_mul_f16_sdwa v7, v11, v7 dst_sel:DWORD dst_unused:UNUSED_PAD src0_sel:WORD_1 src1_sel:DWORD
	v_fma_f16 v6, v11, v6, -v7
	v_cvt_f64_f32_e32 v[4:5], v5
	v_mul_f64 v[4:5], v[4:5], s[2:3]
	v_and_or_b32 v4, v5, s6, v4
	v_cmp_ne_u32_e32 vcc, 0, v4
	v_lshrrev_b32_e32 v8, 8, v5
	v_bfe_u32 v9, v5, 20, 11
	v_cndmask_b32_e64 v4, 0, 1, vcc
	v_and_or_b32 v4, v8, s7, v4
	v_sub_u32_e32 v10, 0x3f1, v9
	v_or_b32_e32 v8, 0x1000, v4
	v_med3_i32 v10, v10, 0, 13
	v_lshrrev_b32_e32 v12, v10, v8
	v_lshlrev_b32_e32 v10, v10, v12
	v_cmp_ne_u32_e32 vcc, v10, v8
	v_add_u32_e32 v9, 0xfffffc10, v9
	v_lshl_or_b32 v10, v9, 12, v4
	v_cndmask_b32_e64 v8, 0, 1, vcc
	v_or_b32_e32 v8, v12, v8
	v_cmp_gt_i32_e32 vcc, 1, v9
	v_cvt_f32_f16_e32 v6, v6
	s_nop 0
	v_cndmask_b32_e32 v8, v10, v8, vcc
	v_and_b32_e32 v10, 7, v8
	v_cmp_lt_i32_e32 vcc, 5, v10
	v_cmp_eq_u32_e64 s[0:1], 3, v10
	v_lshrrev_b32_e32 v8, 2, v8
	s_or_b64 vcc, s[0:1], vcc
	v_addc_co_u32_e32 v8, vcc, 0, v8, vcc
	v_cmp_gt_i32_e32 vcc, 31, v9
	s_nop 1
	v_cndmask_b32_e32 v8, v0, v8, vcc
	v_cmp_ne_u32_e32 vcc, 0, v4
	s_nop 1
	v_cndmask_b32_e64 v4, 0, 1, vcc
	v_lshl_or_b32 v4, v4, 9, v0
	v_cmp_eq_u32_e32 vcc, s8, v9
	s_nop 1
	v_cndmask_b32_e32 v7, v8, v4, vcc
	v_and_b32_sdwa v8, v5, s9 dst_sel:DWORD dst_unused:UNUSED_PAD src0_sel:WORD_1 src1_sel:DWORD
	v_cvt_f64_f32_e32 v[4:5], v6
	v_mul_f64 v[4:5], v[4:5], s[2:3]
	v_and_or_b32 v4, v5, s6, v4
	v_cmp_ne_u32_e32 vcc, 0, v4
	v_lshrrev_b32_e32 v6, 8, v5
	v_bfe_u32 v9, v5, 20, 11
	v_cndmask_b32_e64 v4, 0, 1, vcc
	v_and_or_b32 v4, v6, s7, v4
	v_sub_u32_e32 v10, 0x3f1, v9
	v_or_b32_e32 v6, 0x1000, v4
	v_med3_i32 v10, v10, 0, 13
	v_lshrrev_b32_e32 v11, v10, v6
	v_lshlrev_b32_e32 v10, v10, v11
	v_cmp_ne_u32_e32 vcc, v10, v6
	v_add_u32_e32 v9, 0xfffffc10, v9
	v_lshl_or_b32 v10, v9, 12, v4
	v_cndmask_b32_e64 v6, 0, 1, vcc
	v_or_b32_e32 v6, v11, v6
	v_cmp_gt_i32_e32 vcc, 1, v9
	s_nop 1
	v_cndmask_b32_e32 v6, v10, v6, vcc
	v_and_b32_e32 v10, 7, v6
	v_cmp_lt_i32_e32 vcc, 5, v10
	v_cmp_eq_u32_e64 s[0:1], 3, v10
	v_lshrrev_b32_e32 v6, 2, v6
	s_or_b64 vcc, s[0:1], vcc
	v_addc_co_u32_e32 v6, vcc, 0, v6, vcc
	v_cmp_gt_i32_e32 vcc, 31, v9
	s_nop 1
	v_cndmask_b32_e32 v6, v0, v6, vcc
	v_cmp_ne_u32_e32 vcc, 0, v4
	s_nop 1
	v_cndmask_b32_e64 v4, 0, 1, vcc
	v_lshl_or_b32 v0, v4, 9, v0
	v_cmp_eq_u32_e32 vcc, s8, v9
	v_lshrrev_b32_e32 v4, 16, v5
	s_nop 0
	v_cndmask_b32_e32 v0, v6, v0, vcc
	v_and_or_b32 v0, v4, s9, v0
	v_bitop3_b32 v4, v8, s10, v7 bitop3:0xc8
	v_lshl_or_b32 v4, v0, 16, v4
	v_mad_u64_u32 v[0:1], s[0:1], s4, v1, v[2:3]
	v_add_u32_e32 v1, s5, v1
	global_store_dword v[0:1], v4, off
.LBB0_10:
	s_endpgm
	.section	.rodata,"a",@progbits
	.p2align	6, 0x0
	.amdhsa_kernel bluestein_single_back_len300_dim1_half_op_CI_CI
		.amdhsa_group_segment_fixed_size 2400
		.amdhsa_private_segment_fixed_size 0
		.amdhsa_kernarg_size 104
		.amdhsa_user_sgpr_count 2
		.amdhsa_user_sgpr_dispatch_ptr 0
		.amdhsa_user_sgpr_queue_ptr 0
		.amdhsa_user_sgpr_kernarg_segment_ptr 1
		.amdhsa_user_sgpr_dispatch_id 0
		.amdhsa_user_sgpr_kernarg_preload_length 0
		.amdhsa_user_sgpr_kernarg_preload_offset 0
		.amdhsa_user_sgpr_private_segment_size 0
		.amdhsa_uses_dynamic_stack 0
		.amdhsa_enable_private_segment 0
		.amdhsa_system_sgpr_workgroup_id_x 1
		.amdhsa_system_sgpr_workgroup_id_y 0
		.amdhsa_system_sgpr_workgroup_id_z 0
		.amdhsa_system_sgpr_workgroup_info 0
		.amdhsa_system_vgpr_workitem_id 0
		.amdhsa_next_free_vgpr 84
		.amdhsa_next_free_sgpr 20
		.amdhsa_accum_offset 84
		.amdhsa_reserve_vcc 1
		.amdhsa_float_round_mode_32 0
		.amdhsa_float_round_mode_16_64 0
		.amdhsa_float_denorm_mode_32 3
		.amdhsa_float_denorm_mode_16_64 3
		.amdhsa_dx10_clamp 1
		.amdhsa_ieee_mode 1
		.amdhsa_fp16_overflow 0
		.amdhsa_tg_split 0
		.amdhsa_exception_fp_ieee_invalid_op 0
		.amdhsa_exception_fp_denorm_src 0
		.amdhsa_exception_fp_ieee_div_zero 0
		.amdhsa_exception_fp_ieee_overflow 0
		.amdhsa_exception_fp_ieee_underflow 0
		.amdhsa_exception_fp_ieee_inexact 0
		.amdhsa_exception_int_div_zero 0
	.end_amdhsa_kernel
	.text
.Lfunc_end0:
	.size	bluestein_single_back_len300_dim1_half_op_CI_CI, .Lfunc_end0-bluestein_single_back_len300_dim1_half_op_CI_CI
                                        ; -- End function
	.section	.AMDGPU.csdata,"",@progbits
; Kernel info:
; codeLenInByte = 14172
; NumSgprs: 26
; NumVgprs: 84
; NumAgprs: 0
; TotalNumVgprs: 84
; ScratchSize: 0
; MemoryBound: 0
; FloatMode: 240
; IeeeMode: 1
; LDSByteSize: 2400 bytes/workgroup (compile time only)
; SGPRBlocks: 3
; VGPRBlocks: 10
; NumSGPRsForWavesPerEU: 26
; NumVGPRsForWavesPerEU: 84
; AccumOffset: 84
; Occupancy: 5
; WaveLimiterHint : 1
; COMPUTE_PGM_RSRC2:SCRATCH_EN: 0
; COMPUTE_PGM_RSRC2:USER_SGPR: 2
; COMPUTE_PGM_RSRC2:TRAP_HANDLER: 0
; COMPUTE_PGM_RSRC2:TGID_X_EN: 1
; COMPUTE_PGM_RSRC2:TGID_Y_EN: 0
; COMPUTE_PGM_RSRC2:TGID_Z_EN: 0
; COMPUTE_PGM_RSRC2:TIDIG_COMP_CNT: 0
; COMPUTE_PGM_RSRC3_GFX90A:ACCUM_OFFSET: 20
; COMPUTE_PGM_RSRC3_GFX90A:TG_SPLIT: 0
	.text
	.p2alignl 6, 3212836864
	.fill 256, 4, 3212836864
	.type	__hip_cuid_779727a2703a6dd4,@object ; @__hip_cuid_779727a2703a6dd4
	.section	.bss,"aw",@nobits
	.globl	__hip_cuid_779727a2703a6dd4
__hip_cuid_779727a2703a6dd4:
	.byte	0                               ; 0x0
	.size	__hip_cuid_779727a2703a6dd4, 1

	.ident	"AMD clang version 19.0.0git (https://github.com/RadeonOpenCompute/llvm-project roc-6.4.0 25133 c7fe45cf4b819c5991fe208aaa96edf142730f1d)"
	.section	".note.GNU-stack","",@progbits
	.addrsig
	.addrsig_sym __hip_cuid_779727a2703a6dd4
	.amdgpu_metadata
---
amdhsa.kernels:
  - .agpr_count:     0
    .args:
      - .actual_access:  read_only
        .address_space:  global
        .offset:         0
        .size:           8
        .value_kind:     global_buffer
      - .actual_access:  read_only
        .address_space:  global
        .offset:         8
        .size:           8
        .value_kind:     global_buffer
      - .actual_access:  read_only
        .address_space:  global
        .offset:         16
        .size:           8
        .value_kind:     global_buffer
      - .actual_access:  read_only
        .address_space:  global
        .offset:         24
        .size:           8
        .value_kind:     global_buffer
      - .actual_access:  read_only
        .address_space:  global
        .offset:         32
        .size:           8
        .value_kind:     global_buffer
      - .offset:         40
        .size:           8
        .value_kind:     by_value
      - .address_space:  global
        .offset:         48
        .size:           8
        .value_kind:     global_buffer
      - .address_space:  global
        .offset:         56
        .size:           8
        .value_kind:     global_buffer
      - .address_space:  global
        .offset:         64
        .size:           8
        .value_kind:     global_buffer
      - .address_space:  global
        .offset:         72
        .size:           8
        .value_kind:     global_buffer
      - .offset:         80
        .size:           4
        .value_kind:     by_value
      - .address_space:  global
        .offset:         88
        .size:           8
        .value_kind:     global_buffer
      - .address_space:  global
        .offset:         96
        .size:           8
        .value_kind:     global_buffer
    .group_segment_fixed_size: 2400
    .kernarg_segment_align: 8
    .kernarg_segment_size: 104
    .language:       OpenCL C
    .language_version:
      - 2
      - 0
    .max_flat_workgroup_size: 60
    .name:           bluestein_single_back_len300_dim1_half_op_CI_CI
    .private_segment_fixed_size: 0
    .sgpr_count:     26
    .sgpr_spill_count: 0
    .symbol:         bluestein_single_back_len300_dim1_half_op_CI_CI.kd
    .uniform_work_group_size: 1
    .uses_dynamic_stack: false
    .vgpr_count:     84
    .vgpr_spill_count: 0
    .wavefront_size: 64
amdhsa.target:   amdgcn-amd-amdhsa--gfx950
amdhsa.version:
  - 1
  - 2
...

	.end_amdgpu_metadata
